;; amdgpu-corpus repo=ROCm/rocFFT kind=compiled arch=gfx950 opt=O3
	.text
	.amdgcn_target "amdgcn-amd-amdhsa--gfx950"
	.amdhsa_code_object_version 6
	.protected	fft_rtc_back_len1734_factors_17_17_6_wgs_102_tpt_102_halfLds_dp_op_CI_CI_sbrr_dirReg ; -- Begin function fft_rtc_back_len1734_factors_17_17_6_wgs_102_tpt_102_halfLds_dp_op_CI_CI_sbrr_dirReg
	.globl	fft_rtc_back_len1734_factors_17_17_6_wgs_102_tpt_102_halfLds_dp_op_CI_CI_sbrr_dirReg
	.p2align	8
	.type	fft_rtc_back_len1734_factors_17_17_6_wgs_102_tpt_102_halfLds_dp_op_CI_CI_sbrr_dirReg,@function
fft_rtc_back_len1734_factors_17_17_6_wgs_102_tpt_102_halfLds_dp_op_CI_CI_sbrr_dirReg: ; @fft_rtc_back_len1734_factors_17_17_6_wgs_102_tpt_102_halfLds_dp_op_CI_CI_sbrr_dirReg
; %bb.0:
	s_load_dwordx4 s[12:15], s[0:1], 0x18
	s_load_dwordx4 s[4:7], s[0:1], 0x0
	;; [unrolled: 1-line block ×3, first 2 shown]
	v_mul_u32_u24_e32 v1, 0x283, v0
	v_add_u32_sdwa v6, s2, v1 dst_sel:DWORD dst_unused:UNUSED_PAD src0_sel:DWORD src1_sel:WORD_1
	s_waitcnt lgkmcnt(0)
	s_load_dwordx2 s[18:19], s[12:13], 0x0
	s_load_dwordx2 s[16:17], s[14:15], 0x0
	v_mov_b32_e32 v2, 0
	v_cmp_lt_u64_e64 s[2:3], s[6:7], 2
	v_mov_b32_e32 v7, v2
	s_and_b64 vcc, exec, s[2:3]
	v_mov_b64_e32 v[4:5], 0
	s_cbranch_vccnz .LBB0_8
; %bb.1:
	s_load_dwordx2 s[2:3], s[0:1], 0x10
	s_add_u32 s20, s14, 8
	s_addc_u32 s21, s15, 0
	s_add_u32 s22, s12, 8
	s_addc_u32 s23, s13, 0
	s_waitcnt lgkmcnt(0)
	s_add_u32 s24, s2, 8
	v_mov_b64_e32 v[4:5], 0
	s_addc_u32 s25, s3, 0
	s_mov_b64 s[26:27], 1
	v_mov_b64_e32 v[92:93], v[4:5]
.LBB0_2:                                ; =>This Inner Loop Header: Depth=1
	s_load_dwordx2 s[28:29], s[24:25], 0x0
                                        ; implicit-def: $vgpr94_vgpr95
	s_waitcnt lgkmcnt(0)
	v_or_b32_e32 v3, s29, v7
	v_cmp_ne_u64_e32 vcc, 0, v[2:3]
	s_and_saveexec_b64 s[2:3], vcc
	s_xor_b64 s[30:31], exec, s[2:3]
	s_cbranch_execz .LBB0_4
; %bb.3:                                ;   in Loop: Header=BB0_2 Depth=1
	v_cvt_f32_u32_e32 v1, s28
	v_cvt_f32_u32_e32 v3, s29
	s_sub_u32 s2, 0, s28
	s_subb_u32 s3, 0, s29
	v_fmac_f32_e32 v1, 0x4f800000, v3
	v_rcp_f32_e32 v1, v1
	s_nop 0
	v_mul_f32_e32 v1, 0x5f7ffffc, v1
	v_mul_f32_e32 v3, 0x2f800000, v1
	v_trunc_f32_e32 v3, v3
	v_fmac_f32_e32 v1, 0xcf800000, v3
	v_cvt_u32_f32_e32 v3, v3
	v_cvt_u32_f32_e32 v1, v1
	v_mul_lo_u32 v8, s2, v3
	v_mul_hi_u32 v10, s2, v1
	v_mul_lo_u32 v9, s3, v1
	v_add_u32_e32 v10, v10, v8
	v_mul_lo_u32 v12, s2, v1
	v_add_u32_e32 v13, v10, v9
	v_mul_hi_u32 v8, v1, v12
	v_mul_hi_u32 v11, v1, v13
	v_mul_lo_u32 v10, v1, v13
	v_mov_b32_e32 v9, v2
	v_lshl_add_u64 v[8:9], v[8:9], 0, v[10:11]
	v_mul_hi_u32 v11, v3, v12
	v_mul_lo_u32 v12, v3, v12
	v_add_co_u32_e32 v8, vcc, v8, v12
	v_mul_hi_u32 v10, v3, v13
	s_nop 0
	v_addc_co_u32_e32 v8, vcc, v9, v11, vcc
	v_mov_b32_e32 v9, v2
	s_nop 0
	v_addc_co_u32_e32 v11, vcc, 0, v10, vcc
	v_mul_lo_u32 v10, v3, v13
	v_lshl_add_u64 v[8:9], v[8:9], 0, v[10:11]
	v_add_co_u32_e32 v1, vcc, v1, v8
	v_mul_lo_u32 v10, s2, v1
	s_nop 0
	v_addc_co_u32_e32 v3, vcc, v3, v9, vcc
	v_mul_lo_u32 v8, s2, v3
	v_mul_hi_u32 v9, s2, v1
	v_add_u32_e32 v8, v9, v8
	v_mul_lo_u32 v9, s3, v1
	v_add_u32_e32 v12, v8, v9
	v_mul_hi_u32 v14, v3, v10
	v_mul_lo_u32 v15, v3, v10
	v_mul_hi_u32 v9, v1, v12
	v_mul_lo_u32 v8, v1, v12
	v_mul_hi_u32 v10, v1, v10
	v_mov_b32_e32 v11, v2
	v_lshl_add_u64 v[8:9], v[10:11], 0, v[8:9]
	v_add_co_u32_e32 v8, vcc, v8, v15
	v_mul_hi_u32 v13, v3, v12
	s_nop 0
	v_addc_co_u32_e32 v8, vcc, v9, v14, vcc
	v_mul_lo_u32 v10, v3, v12
	s_nop 0
	v_addc_co_u32_e32 v11, vcc, 0, v13, vcc
	v_mov_b32_e32 v9, v2
	v_lshl_add_u64 v[8:9], v[8:9], 0, v[10:11]
	v_add_co_u32_e32 v1, vcc, v1, v8
	v_mul_hi_u32 v10, v6, v1
	s_nop 0
	v_addc_co_u32_e32 v3, vcc, v3, v9, vcc
	v_mad_u64_u32 v[8:9], s[2:3], v6, v3, 0
	v_mov_b32_e32 v11, v2
	v_lshl_add_u64 v[8:9], v[10:11], 0, v[8:9]
	v_mad_u64_u32 v[12:13], s[2:3], v7, v1, 0
	v_add_co_u32_e32 v1, vcc, v8, v12
	v_mad_u64_u32 v[10:11], s[2:3], v7, v3, 0
	s_nop 0
	v_addc_co_u32_e32 v8, vcc, v9, v13, vcc
	v_mov_b32_e32 v9, v2
	s_nop 0
	v_addc_co_u32_e32 v11, vcc, 0, v11, vcc
	v_lshl_add_u64 v[8:9], v[8:9], 0, v[10:11]
	v_mul_lo_u32 v1, s29, v8
	v_mul_lo_u32 v3, s28, v9
	v_mad_u64_u32 v[10:11], s[2:3], s28, v8, 0
	v_add3_u32 v1, v11, v3, v1
	v_sub_u32_e32 v3, v7, v1
	v_mov_b32_e32 v11, s29
	v_sub_co_u32_e32 v14, vcc, v6, v10
	v_lshl_add_u64 v[12:13], v[8:9], 0, 1
	s_nop 0
	v_subb_co_u32_e64 v3, s[2:3], v3, v11, vcc
	v_subrev_co_u32_e64 v10, s[2:3], s28, v14
	v_subb_co_u32_e32 v1, vcc, v7, v1, vcc
	s_nop 0
	v_subbrev_co_u32_e64 v3, s[2:3], 0, v3, s[2:3]
	v_cmp_le_u32_e64 s[2:3], s29, v3
	v_cmp_le_u32_e32 vcc, s29, v1
	s_nop 0
	v_cndmask_b32_e64 v11, 0, -1, s[2:3]
	v_cmp_le_u32_e64 s[2:3], s28, v10
	s_nop 1
	v_cndmask_b32_e64 v10, 0, -1, s[2:3]
	v_cmp_eq_u32_e64 s[2:3], s29, v3
	s_nop 1
	v_cndmask_b32_e64 v3, v11, v10, s[2:3]
	v_lshl_add_u64 v[10:11], v[8:9], 0, 2
	v_cmp_ne_u32_e64 s[2:3], 0, v3
	s_nop 1
	v_cndmask_b32_e64 v3, v13, v11, s[2:3]
	v_cndmask_b32_e64 v11, 0, -1, vcc
	v_cmp_le_u32_e32 vcc, s28, v14
	s_nop 1
	v_cndmask_b32_e64 v13, 0, -1, vcc
	v_cmp_eq_u32_e32 vcc, s29, v1
	s_nop 1
	v_cndmask_b32_e32 v1, v11, v13, vcc
	v_cmp_ne_u32_e32 vcc, 0, v1
	v_cndmask_b32_e64 v1, v12, v10, s[2:3]
	s_nop 0
	v_cndmask_b32_e32 v95, v9, v3, vcc
	v_cndmask_b32_e32 v94, v8, v1, vcc
.LBB0_4:                                ;   in Loop: Header=BB0_2 Depth=1
	s_andn2_saveexec_b64 s[2:3], s[30:31]
	s_cbranch_execz .LBB0_6
; %bb.5:                                ;   in Loop: Header=BB0_2 Depth=1
	v_cvt_f32_u32_e32 v1, s28
	s_sub_i32 s30, 0, s28
	v_mov_b32_e32 v95, v2
	v_rcp_iflag_f32_e32 v1, v1
	s_nop 0
	v_mul_f32_e32 v1, 0x4f7ffffe, v1
	v_cvt_u32_f32_e32 v1, v1
	v_mul_lo_u32 v3, s30, v1
	v_mul_hi_u32 v3, v1, v3
	v_add_u32_e32 v1, v1, v3
	v_mul_hi_u32 v1, v6, v1
	v_mul_lo_u32 v3, v1, s28
	v_sub_u32_e32 v3, v6, v3
	v_add_u32_e32 v8, 1, v1
	v_subrev_u32_e32 v9, s28, v3
	v_cmp_le_u32_e32 vcc, s28, v3
	s_nop 1
	v_cndmask_b32_e32 v3, v3, v9, vcc
	v_cndmask_b32_e32 v1, v1, v8, vcc
	v_add_u32_e32 v8, 1, v1
	v_cmp_le_u32_e32 vcc, s28, v3
	s_nop 1
	v_cndmask_b32_e32 v94, v1, v8, vcc
.LBB0_6:                                ;   in Loop: Header=BB0_2 Depth=1
	s_or_b64 exec, exec, s[2:3]
	v_mad_u64_u32 v[8:9], s[2:3], v94, s28, 0
	s_load_dwordx2 s[2:3], s[22:23], 0x0
	v_mul_lo_u32 v1, v95, s28
	v_mul_lo_u32 v3, v94, s29
	s_load_dwordx2 s[28:29], s[20:21], 0x0
	s_add_u32 s26, s26, 1
	v_add3_u32 v1, v9, v3, v1
	v_sub_co_u32_e32 v3, vcc, v6, v8
	s_addc_u32 s27, s27, 0
	s_nop 0
	v_subb_co_u32_e32 v1, vcc, v7, v1, vcc
	s_add_u32 s20, s20, 8
	s_waitcnt lgkmcnt(0)
	v_mul_lo_u32 v6, s2, v1
	v_mul_lo_u32 v7, s3, v3
	v_mad_u64_u32 v[4:5], s[2:3], s2, v3, v[4:5]
	s_addc_u32 s21, s21, 0
	v_add3_u32 v5, v7, v5, v6
	v_mul_lo_u32 v1, s28, v1
	v_mul_lo_u32 v6, s29, v3
	v_mad_u64_u32 v[92:93], s[2:3], s28, v3, v[92:93]
	s_add_u32 s22, s22, 8
	v_add3_u32 v93, v6, v93, v1
	s_addc_u32 s23, s23, 0
	v_mov_b64_e32 v[6:7], s[6:7]
	s_add_u32 s24, s24, 8
	v_cmp_ge_u64_e32 vcc, s[26:27], v[6:7]
	s_addc_u32 s25, s25, 0
	s_cbranch_vccnz .LBB0_9
; %bb.7:                                ;   in Loop: Header=BB0_2 Depth=1
	v_mov_b64_e32 v[6:7], v[94:95]
	s_branch .LBB0_2
.LBB0_8:
	v_mov_b64_e32 v[92:93], v[4:5]
	v_mov_b64_e32 v[94:95], v[6:7]
.LBB0_9:
	s_load_dwordx2 s[0:1], s[0:1], 0x28
	s_lshl_b64 s[2:3], s[6:7], 3
	s_add_u32 s42, s14, s2
	s_addc_u32 s43, s15, s3
                                        ; implicit-def: $vgpr108
                                        ; implicit-def: $vgpr110
                                        ; implicit-def: $vgpr109
	s_waitcnt lgkmcnt(0)
	v_cmp_gt_u64_e32 vcc, s[0:1], v[94:95]
	v_cmp_le_u64_e64 s[0:1], s[0:1], v[94:95]
	s_and_saveexec_b64 s[6:7], s[0:1]
	s_xor_b64 s[0:1], exec, s[6:7]
; %bb.10:
	s_mov_b32 s6, 0x2828283
	v_mul_hi_u32 v1, v0, s6
	v_mul_u32_u24_e32 v1, 0x66, v1
	v_sub_u32_e32 v108, v0, v1
	v_add_u32_e32 v110, 0x66, v108
	v_add_u32_e32 v109, 0xcc, v108
                                        ; implicit-def: $vgpr0
                                        ; implicit-def: $vgpr4_vgpr5
; %bb.11:
	s_or_saveexec_b64 s[0:1], s[0:1]
                                        ; implicit-def: $vgpr66_vgpr67
                                        ; implicit-def: $vgpr62_vgpr63
                                        ; implicit-def: $vgpr58_vgpr59
                                        ; implicit-def: $vgpr46_vgpr47
                                        ; implicit-def: $vgpr38_vgpr39
                                        ; implicit-def: $vgpr30_vgpr31
                                        ; implicit-def: $vgpr22_vgpr23
                                        ; implicit-def: $vgpr6_vgpr7
                                        ; implicit-def: $vgpr2_vgpr3
                                        ; implicit-def: $vgpr10_vgpr11
                                        ; implicit-def: $vgpr14_vgpr15
                                        ; implicit-def: $vgpr18_vgpr19
                                        ; implicit-def: $vgpr26_vgpr27
                                        ; implicit-def: $vgpr42_vgpr43
                                        ; implicit-def: $vgpr50_vgpr51
                                        ; implicit-def: $vgpr54_vgpr55
                                        ; implicit-def: $vgpr34_vgpr35
	s_xor_b64 exec, exec, s[0:1]
	s_cbranch_execz .LBB0_13
; %bb.12:
	s_add_u32 s2, s12, s2
	s_addc_u32 s3, s13, s3
	s_load_dwordx2 s[2:3], s[2:3], 0x0
	s_mov_b32 s6, 0x2828283
	s_waitcnt lgkmcnt(0)
	v_mul_lo_u32 v1, s3, v94
	v_mul_lo_u32 v6, s2, v95
	v_mad_u64_u32 v[2:3], s[2:3], s2, v94, 0
	v_add3_u32 v3, v3, v6, v1
	v_mul_hi_u32 v1, v0, s6
	v_mul_u32_u24_e32 v1, 0x66, v1
	v_sub_u32_e32 v108, v0, v1
	v_mad_u64_u32 v[6:7], s[2:3], s18, v108, 0
	v_mov_b32_e32 v0, v7
	v_mad_u64_u32 v[0:1], s[2:3], s19, v108, v[0:1]
	v_mov_b32_e32 v7, v0
	v_lshl_add_u64 v[0:1], v[2:3], 4, s[8:9]
	v_add_u32_e32 v110, 0x66, v108
	v_lshl_add_u64 v[0:1], v[4:5], 4, v[0:1]
	v_mad_u64_u32 v[4:5], s[2:3], s18, v110, 0
	v_lshl_add_u64 v[2:3], v[6:7], 4, v[0:1]
	v_mov_b32_e32 v6, v5
	v_mad_u64_u32 v[6:7], s[2:3], s19, v110, v[6:7]
	v_mov_b32_e32 v5, v6
	v_add_u32_e32 v109, 0xcc, v108
	v_lshl_add_u64 v[4:5], v[4:5], 4, v[0:1]
	global_load_dwordx4 v[32:35], v[2:3], off
	global_load_dwordx4 v[52:55], v[4:5], off
	v_mad_u64_u32 v[2:3], s[2:3], s18, v109, 0
	v_mov_b32_e32 v4, v3
	v_mad_u64_u32 v[4:5], s[2:3], s19, v109, v[4:5]
	v_add_u32_e32 v7, 0x132, v108
	v_mov_b32_e32 v3, v4
	v_mad_u64_u32 v[4:5], s[2:3], s18, v7, 0
	v_mov_b32_e32 v6, v5
	v_mad_u64_u32 v[6:7], s[2:3], s19, v7, v[6:7]
	v_mov_b32_e32 v5, v6
	v_lshl_add_u64 v[2:3], v[2:3], 4, v[0:1]
	v_lshl_add_u64 v[4:5], v[4:5], 4, v[0:1]
	global_load_dwordx4 v[48:51], v[2:3], off
	global_load_dwordx4 v[40:43], v[4:5], off
	v_add_u32_e32 v5, 0x198, v108
	v_mad_u64_u32 v[2:3], s[2:3], s18, v5, 0
	v_mov_b32_e32 v4, v3
	v_mad_u64_u32 v[4:5], s[2:3], s19, v5, v[4:5]
	v_add_u32_e32 v7, 0x1fe, v108
	v_mov_b32_e32 v3, v4
	v_mad_u64_u32 v[4:5], s[2:3], s18, v7, 0
	v_mov_b32_e32 v6, v5
	v_mad_u64_u32 v[6:7], s[2:3], s19, v7, v[6:7]
	v_mov_b32_e32 v5, v6
	v_lshl_add_u64 v[2:3], v[2:3], 4, v[0:1]
	v_lshl_add_u64 v[4:5], v[4:5], 4, v[0:1]
	global_load_dwordx4 v[24:27], v[2:3], off
	global_load_dwordx4 v[16:19], v[4:5], off
	v_add_u32_e32 v5, 0x264, v108
	;; [unrolled: 14-line block ×3, first 2 shown]
	v_mad_u64_u32 v[2:3], s[2:3], s18, v5, 0
	v_mov_b32_e32 v4, v3
	v_mad_u64_u32 v[4:5], s[2:3], s19, v5, v[4:5]
	v_mov_b32_e32 v3, v4
	v_add_u32_e32 v5, 0x396, v108
	v_lshl_add_u64 v[68:69], v[2:3], 4, v[0:1]
	v_mad_u64_u32 v[2:3], s[2:3], s18, v5, 0
	v_mov_b32_e32 v4, v3
	v_mad_u64_u32 v[4:5], s[2:3], s19, v5, v[4:5]
	v_mov_b32_e32 v3, v4
	v_add_u32_e32 v5, 0x3fc, v108
	v_lshl_add_u64 v[70:71], v[2:3], 4, v[0:1]
	;; [unrolled: 6-line block ×8, first 2 shown]
	v_mad_u64_u32 v[2:3], s[2:3], s18, v5, 0
	v_mov_b32_e32 v4, v3
	v_mad_u64_u32 v[4:5], s[2:3], s19, v5, v[4:5]
	v_mov_b32_e32 v3, v4
	v_lshl_add_u64 v[84:85], v[2:3], 4, v[0:1]
	global_load_dwordx4 v[0:3], v[68:69], off
	global_load_dwordx4 v[4:7], v[70:71], off
	;; [unrolled: 1-line block ×9, first 2 shown]
.LBB0_13:
	s_or_b64 exec, exec, s[0:1]
	s_waitcnt vmcnt(15)
	v_add_f64 v[68:69], v[52:53], v[32:33]
	v_add_f64 v[70:71], v[54:55], v[34:35]
	s_waitcnt vmcnt(14)
	v_add_f64 v[68:69], v[48:49], v[68:69]
	v_add_f64 v[70:71], v[50:51], v[70:71]
	;; [unrolled: 3-line block ×14, first 2 shown]
	s_mov_b32 s2, 0x5d8e7cdc
	s_mov_b32 s6, 0x2a9d6da3
	s_mov_b32 s8, 0x7c9e640b
	s_mov_b32 s12, 0xeb564b22
	s_mov_b32 s24, 0x923c349f
	s_mov_b32 s28, 0x6c9a05f6
	s_mov_b32 s34, 0x4363dd80
	s_mov_b32 s38, 0xacd6c6b4
	s_waitcnt vmcnt(1)
	v_add_f64 v[68:69], v[60:61], v[68:69]
	v_add_f64 v[72:73], v[62:63], v[70:71]
	s_waitcnt vmcnt(0)
	v_add_f64 v[74:75], v[66:67], v[54:55]
	v_add_f64 v[54:55], v[54:55], -v[66:67]
	s_mov_b32 s3, 0xbfd71e95
	s_mov_b32 s14, 0x370991
	;; [unrolled: 1-line block ×16, first 2 shown]
	v_add_f64 v[70:71], v[64:65], v[68:69]
	v_add_f64 v[68:69], v[66:67], v[72:73]
	;; [unrolled: 1-line block ×3, first 2 shown]
	v_add_f64 v[52:53], v[52:53], -v[64:65]
	v_mul_f64 v[64:65], v[54:55], s[2:3]
	s_mov_b32 s15, 0x3fedd6d0
	v_mul_f64 v[80:81], v[54:55], s[6:7]
	s_mov_b32 s19, 0x3fe7a5f6
	v_mul_f64 v[88:89], v[54:55], s[8:9]
	s_mov_b32 s21, 0x3fdc86fa
	v_mul_f64 v[100:101], v[54:55], s[12:13]
	s_mov_b32 s23, 0x3fb79ee6
	v_mul_f64 v[104:105], v[54:55], s[24:25]
	s_mov_b32 s27, 0xbfd183b1
	v_mul_f64 v[112:113], v[54:55], s[28:29]
	s_mov_b32 s31, 0xbfe348c8
	v_add_f64 v[116:117], v[60:61], v[48:49]
	v_add_f64 v[48:49], v[48:49], -v[60:61]
	v_add_f64 v[60:61], v[56:57], v[40:41]
	v_add_f64 v[40:41], v[40:41], -v[56:57]
	v_mul_f64 v[56:57], v[54:55], s[34:35]
	s_mov_b32 s37, 0xbfeb34fa
	v_mul_f64 v[54:55], v[54:55], s[38:39]
	s_mov_b32 s41, 0xbfef7484
	v_fma_f64 v[66:67], s[14:15], v[72:73], v[64:65]
	v_mul_f64 v[76:77], v[52:53], s[2:3]
	v_fma_f64 v[64:65], v[72:73], s[14:15], -v[64:65]
	v_fma_f64 v[82:83], s[18:19], v[72:73], v[80:81]
	v_mul_f64 v[84:85], v[52:53], s[6:7]
	v_fma_f64 v[80:81], v[72:73], s[18:19], -v[80:81]
	;; [unrolled: 3-line block ×3, first 2 shown]
	v_fma_f64 v[102:103], s[22:23], v[72:73], v[100:101]
	v_fma_f64 v[100:101], v[72:73], s[22:23], -v[100:101]
	v_fma_f64 v[106:107], s[26:27], v[72:73], v[104:105]
	v_fma_f64 v[104:105], v[72:73], s[26:27], -v[104:105]
	v_fma_f64 v[114:115], s[30:31], v[72:73], v[112:113]
	v_fma_f64 v[112:113], v[72:73], s[30:31], -v[112:113]
	v_add_f64 v[118:119], v[62:63], v[50:51]
	v_add_f64 v[50:51], v[50:51], -v[62:63]
	v_add_f64 v[62:63], v[58:59], v[42:43]
	v_add_f64 v[42:43], v[42:43], -v[58:59]
	v_fma_f64 v[58:59], s[36:37], v[72:73], v[56:57]
	v_fma_f64 v[56:57], v[72:73], s[36:37], -v[56:57]
	v_fma_f64 v[120:121], s[40:41], v[72:73], v[54:55]
	v_fma_f64 v[54:55], v[72:73], s[40:41], -v[54:55]
	v_mul_f64 v[72:73], v[52:53], s[12:13]
	v_mul_f64 v[124:125], v[52:53], s[24:25]
	;; [unrolled: 1-line block ×5, first 2 shown]
	v_fma_f64 v[78:79], v[74:75], s[14:15], -v[76:77]
	v_fmac_f64_e32 v[76:77], s[14:15], v[74:75]
	v_fma_f64 v[86:87], v[74:75], s[18:19], -v[84:85]
	v_fmac_f64_e32 v[84:85], s[18:19], v[74:75]
	;; [unrolled: 2-line block ×8, first 2 shown]
	v_add_f64 v[74:75], v[34:35], v[78:79]
	v_add_f64 v[76:77], v[34:35], v[76:77]
	v_add_f64 v[78:79], v[32:33], v[82:83]
	v_add_f64 v[82:83], v[34:35], v[86:87]
	v_add_f64 v[84:85], v[34:35], v[84:85]
	v_add_f64 v[86:87], v[32:33], v[90:91]
	v_add_f64 v[90:91], v[34:35], v[98:99]
	v_add_f64 v[96:97], v[34:35], v[96:97]
	v_add_f64 v[98:99], v[32:33], v[102:103]
	v_add_f64 v[102:103], v[34:35], v[122:123]
	v_add_f64 v[72:73], v[34:35], v[72:73]
	v_add_f64 v[122:123], v[34:35], v[126:127]
	v_add_f64 v[124:125], v[34:35], v[124:125]
	v_add_f64 v[126:127], v[34:35], v[130:131]
	v_add_f64 v[128:129], v[34:35], v[128:129]
	v_add_f64 v[130:131], v[34:35], v[134:135]
	v_add_f64 v[132:133], v[34:35], v[132:133]
	v_add_f64 v[134:135], v[34:35], v[136:137]
	v_add_f64 v[34:35], v[34:35], v[52:53]
	v_mul_f64 v[52:53], v[50:51], s[6:7]
	v_add_f64 v[66:67], v[32:33], v[66:67]
	v_add_f64 v[64:65], v[32:33], v[64:65]
	;; [unrolled: 1-line block ×13, first 2 shown]
	v_fma_f64 v[54:55], s[18:19], v[116:117], v[52:53]
	v_add_f64 v[54:55], v[54:55], v[66:67]
	v_mul_f64 v[66:67], v[48:49], s[6:7]
	v_fma_f64 v[136:137], v[118:119], s[18:19], -v[66:67]
	v_fma_f64 v[52:53], v[116:117], s[18:19], -v[52:53]
	v_fmac_f64_e32 v[66:67], s[18:19], v[118:119]
	v_add_f64 v[52:53], v[52:53], v[64:65]
	v_add_f64 v[64:65], v[66:67], v[76:77]
	v_mul_f64 v[66:67], v[50:51], s[12:13]
	v_fma_f64 v[76:77], s[22:23], v[116:117], v[66:67]
	v_add_f64 v[76:77], v[76:77], v[78:79]
	v_mul_f64 v[78:79], v[48:49], s[12:13]
	v_fma_f64 v[66:67], v[116:117], s[22:23], -v[66:67]
	v_add_f64 v[74:75], v[136:137], v[74:75]
	v_fma_f64 v[136:137], v[118:119], s[22:23], -v[78:79]
	v_add_f64 v[66:67], v[66:67], v[80:81]
	v_fmac_f64_e32 v[78:79], s[22:23], v[118:119]
	v_mul_f64 v[80:81], v[50:51], s[28:29]
	v_add_f64 v[78:79], v[78:79], v[84:85]
	v_fma_f64 v[84:85], s[30:31], v[116:117], v[80:81]
	v_add_f64 v[84:85], v[84:85], v[86:87]
	v_mul_f64 v[86:87], v[48:49], s[28:29]
	v_fma_f64 v[80:81], v[116:117], s[30:31], -v[80:81]
	v_add_f64 v[82:83], v[136:137], v[82:83]
	v_fma_f64 v[136:137], v[118:119], s[30:31], -v[86:87]
	v_add_f64 v[80:81], v[80:81], v[88:89]
	v_fmac_f64_e32 v[86:87], s[30:31], v[118:119]
	v_mul_f64 v[88:89], v[50:51], s[38:39]
	v_add_f64 v[86:87], v[86:87], v[96:97]
	v_fma_f64 v[96:97], s[40:41], v[116:117], v[88:89]
	v_add_f64 v[96:97], v[96:97], v[98:99]
	v_mul_f64 v[98:99], v[48:49], s[38:39]
	v_add_f64 v[90:91], v[136:137], v[90:91]
	v_fma_f64 v[136:137], v[118:119], s[40:41], -v[98:99]
	v_fmac_f64_e32 v[98:99], s[40:41], v[118:119]
	s_mov_b32 s47, 0x3fe0d888
	s_mov_b32 s46, s34
	v_fma_f64 v[88:89], v[116:117], s[40:41], -v[88:89]
	v_add_f64 v[72:73], v[98:99], v[72:73]
	v_mul_f64 v[98:99], v[50:51], s[46:47]
	v_add_f64 v[88:89], v[88:89], v[100:101]
	v_fma_f64 v[100:101], s[36:37], v[116:117], v[98:99]
	v_add_f64 v[100:101], v[100:101], v[106:107]
	v_mul_f64 v[106:107], v[48:49], s[46:47]
	v_add_f64 v[102:103], v[136:137], v[102:103]
	v_fma_f64 v[136:137], v[118:119], s[36:37], -v[106:107]
	v_fma_f64 v[98:99], v[116:117], s[36:37], -v[98:99]
	v_fmac_f64_e32 v[106:107], s[36:37], v[118:119]
	s_mov_b32 s45, 0x3feec746
	s_mov_b32 s44, s24
	v_add_f64 v[98:99], v[98:99], v[104:105]
	v_add_f64 v[104:105], v[106:107], v[124:125]
	v_mul_f64 v[106:107], v[50:51], s[44:45]
	v_fma_f64 v[124:125], s[26:27], v[116:117], v[106:107]
	v_add_f64 v[114:115], v[124:125], v[114:115]
	v_mul_f64 v[124:125], v[48:49], s[44:45]
	v_add_f64 v[122:123], v[136:137], v[122:123]
	v_fma_f64 v[136:137], v[118:119], s[26:27], -v[124:125]
	v_fma_f64 v[106:107], v[116:117], s[26:27], -v[106:107]
	v_fmac_f64_e32 v[124:125], s[26:27], v[118:119]
	s_mov_b32 s49, 0x3feca52d
	s_mov_b32 s48, s8
	v_add_f64 v[106:107], v[106:107], v[112:113]
	v_add_f64 v[112:113], v[124:125], v[128:129]
	v_mul_f64 v[124:125], v[50:51], s[48:49]
	v_fma_f64 v[128:129], s[20:21], v[116:117], v[124:125]
	v_add_f64 v[58:59], v[128:129], v[58:59]
	v_mul_f64 v[128:129], v[48:49], s[48:49]
	s_mov_b32 s51, 0x3fd71e95
	s_mov_b32 s50, s2
	v_add_f64 v[126:127], v[136:137], v[126:127]
	v_fma_f64 v[136:137], v[118:119], s[20:21], -v[128:129]
	v_fma_f64 v[124:125], v[116:117], s[20:21], -v[124:125]
	v_fmac_f64_e32 v[128:129], s[20:21], v[118:119]
	v_mul_f64 v[50:51], v[50:51], s[50:51]
	v_add_f64 v[56:57], v[124:125], v[56:57]
	v_add_f64 v[124:125], v[128:129], v[132:133]
	v_fma_f64 v[128:129], s[14:15], v[116:117], v[50:51]
	v_mul_f64 v[48:49], v[48:49], s[50:51]
	v_add_f64 v[120:121], v[128:129], v[120:121]
	v_fma_f64 v[128:129], v[118:119], s[14:15], -v[48:49]
	v_fmac_f64_e32 v[48:49], s[14:15], v[118:119]
	v_fma_f64 v[50:51], v[116:117], s[14:15], -v[50:51]
	v_add_f64 v[34:35], v[48:49], v[34:35]
	v_mul_f64 v[48:49], v[42:43], s[8:9]
	v_add_f64 v[32:33], v[50:51], v[32:33]
	v_fma_f64 v[50:51], s[20:21], v[60:61], v[48:49]
	v_add_f64 v[50:51], v[50:51], v[54:55]
	v_mul_f64 v[54:55], v[40:41], s[8:9]
	v_fma_f64 v[116:117], v[62:63], s[20:21], -v[54:55]
	v_fma_f64 v[48:49], v[60:61], s[20:21], -v[48:49]
	v_fmac_f64_e32 v[54:55], s[20:21], v[62:63]
	v_add_f64 v[48:49], v[48:49], v[52:53]
	v_add_f64 v[52:53], v[54:55], v[64:65]
	v_mul_f64 v[54:55], v[42:43], s[28:29]
	v_fma_f64 v[64:65], s[30:31], v[60:61], v[54:55]
	v_add_f64 v[64:65], v[64:65], v[76:77]
	v_mul_f64 v[76:77], v[40:41], s[28:29]
	v_add_f64 v[74:75], v[116:117], v[74:75]
	v_fma_f64 v[116:117], v[62:63], s[30:31], -v[76:77]
	v_fma_f64 v[54:55], v[60:61], s[30:31], -v[54:55]
	v_fmac_f64_e32 v[76:77], s[30:31], v[62:63]
	s_mov_b32 s53, 0x3fc7851a
	s_mov_b32 s52, s38
	v_add_f64 v[54:55], v[54:55], v[66:67]
	v_add_f64 v[66:67], v[76:77], v[78:79]
	v_mul_f64 v[76:77], v[42:43], s[52:53]
	v_fma_f64 v[78:79], s[40:41], v[60:61], v[76:77]
	v_add_f64 v[78:79], v[78:79], v[84:85]
	v_mul_f64 v[84:85], v[40:41], s[52:53]
	v_add_f64 v[82:83], v[116:117], v[82:83]
	v_fma_f64 v[116:117], v[62:63], s[40:41], -v[84:85]
	v_fma_f64 v[76:77], v[60:61], s[40:41], -v[76:77]
	v_fmac_f64_e32 v[84:85], s[40:41], v[62:63]
	v_add_f64 v[76:77], v[76:77], v[80:81]
	v_add_f64 v[80:81], v[84:85], v[86:87]
	v_mul_f64 v[84:85], v[42:43], s[44:45]
	v_fma_f64 v[86:87], s[26:27], v[60:61], v[84:85]
	v_add_f64 v[86:87], v[86:87], v[96:97]
	v_mul_f64 v[96:97], v[40:41], s[44:45]
	v_fma_f64 v[84:85], v[60:61], s[26:27], -v[84:85]
	s_mov_b32 s55, 0x3fe58eea
	s_mov_b32 s54, s6
	v_add_f64 v[90:91], v[116:117], v[90:91]
	v_fma_f64 v[116:117], v[62:63], s[26:27], -v[96:97]
	v_add_f64 v[84:85], v[84:85], v[88:89]
	v_fmac_f64_e32 v[96:97], s[26:27], v[62:63]
	v_mul_f64 v[88:89], v[42:43], s[54:55]
	v_add_f64 v[72:73], v[96:97], v[72:73]
	v_fma_f64 v[96:97], s[18:19], v[60:61], v[88:89]
	v_add_f64 v[96:97], v[96:97], v[100:101]
	v_mul_f64 v[100:101], v[40:41], s[54:55]
	v_add_f64 v[102:103], v[116:117], v[102:103]
	v_fma_f64 v[116:117], v[62:63], s[18:19], -v[100:101]
	v_fma_f64 v[88:89], v[60:61], s[18:19], -v[88:89]
	v_fmac_f64_e32 v[100:101], s[18:19], v[62:63]
	v_add_f64 v[88:89], v[88:89], v[98:99]
	v_add_f64 v[98:99], v[100:101], v[104:105]
	v_mul_f64 v[100:101], v[42:43], s[2:3]
	v_fma_f64 v[104:105], s[14:15], v[60:61], v[100:101]
	v_add_f64 v[104:105], v[104:105], v[114:115]
	v_mul_f64 v[114:115], v[40:41], s[2:3]
	v_fma_f64 v[118:119], v[62:63], s[14:15], -v[114:115]
	v_fma_f64 v[100:101], v[60:61], s[14:15], -v[100:101]
	v_fmac_f64_e32 v[114:115], s[14:15], v[62:63]
	v_add_f64 v[100:101], v[100:101], v[106:107]
	v_add_f64 v[106:107], v[114:115], v[112:113]
	v_mul_f64 v[112:113], v[42:43], s[12:13]
	v_fma_f64 v[114:115], s[22:23], v[60:61], v[112:113]
	v_add_f64 v[58:59], v[114:115], v[58:59]
	v_mul_f64 v[114:115], v[40:41], s[12:13]
	v_add_f64 v[116:117], v[116:117], v[122:123]
	v_fma_f64 v[122:123], v[62:63], s[22:23], -v[114:115]
	v_fma_f64 v[112:113], v[60:61], s[22:23], -v[112:113]
	v_fmac_f64_e32 v[114:115], s[22:23], v[62:63]
	v_mul_f64 v[42:43], v[42:43], s[34:35]
	v_add_f64 v[56:57], v[112:113], v[56:57]
	v_add_f64 v[112:113], v[114:115], v[124:125]
	v_fma_f64 v[114:115], s[36:37], v[60:61], v[42:43]
	v_mul_f64 v[40:41], v[40:41], s[34:35]
	v_fma_f64 v[42:43], v[60:61], s[36:37], -v[42:43]
	v_add_f64 v[114:115], v[114:115], v[120:121]
	v_fma_f64 v[120:121], v[62:63], s[36:37], -v[40:41]
	v_add_f64 v[32:33], v[42:43], v[32:33]
	v_fmac_f64_e32 v[40:41], s[36:37], v[62:63]
	v_add_f64 v[42:43], v[46:47], v[26:27]
	v_add_f64 v[26:27], v[26:27], -v[46:47]
	v_add_f64 v[34:35], v[40:41], v[34:35]
	v_add_f64 v[40:41], v[44:45], v[24:25]
	v_add_f64 v[24:25], v[24:25], -v[44:45]
	v_mul_f64 v[44:45], v[26:27], s[12:13]
	v_fma_f64 v[46:47], s[22:23], v[40:41], v[44:45]
	v_add_f64 v[46:47], v[46:47], v[50:51]
	v_mul_f64 v[50:51], v[24:25], s[12:13]
	v_fma_f64 v[60:61], v[42:43], s[22:23], -v[50:51]
	v_fma_f64 v[44:45], v[40:41], s[22:23], -v[44:45]
	v_fmac_f64_e32 v[50:51], s[22:23], v[42:43]
	v_add_f64 v[44:45], v[44:45], v[48:49]
	v_add_f64 v[48:49], v[50:51], v[52:53]
	v_mul_f64 v[50:51], v[26:27], s[38:39]
	v_fma_f64 v[52:53], s[40:41], v[40:41], v[50:51]
	v_mul_f64 v[62:63], v[24:25], s[38:39]
	v_add_f64 v[52:53], v[52:53], v[64:65]
	v_fma_f64 v[64:65], v[42:43], s[40:41], -v[62:63]
	v_fma_f64 v[50:51], v[40:41], s[40:41], -v[50:51]
	v_fmac_f64_e32 v[62:63], s[40:41], v[42:43]
	v_add_f64 v[50:51], v[50:51], v[54:55]
	v_add_f64 v[54:55], v[62:63], v[66:67]
	v_mul_f64 v[62:63], v[26:27], s[44:45]
	v_add_f64 v[60:61], v[60:61], v[74:75]
	v_fma_f64 v[66:67], s[26:27], v[40:41], v[62:63]
	v_mul_f64 v[74:75], v[24:25], s[44:45]
	v_fma_f64 v[62:63], v[40:41], s[26:27], -v[62:63]
	v_add_f64 v[66:67], v[66:67], v[78:79]
	v_fma_f64 v[78:79], v[42:43], s[26:27], -v[74:75]
	v_add_f64 v[62:63], v[62:63], v[76:77]
	v_fmac_f64_e32 v[74:75], s[26:27], v[42:43]
	v_mul_f64 v[76:77], v[26:27], s[50:51]
	v_add_f64 v[64:65], v[64:65], v[82:83]
	v_add_f64 v[74:75], v[74:75], v[80:81]
	v_fma_f64 v[80:81], s[14:15], v[40:41], v[76:77]
	v_mul_f64 v[82:83], v[24:25], s[50:51]
	v_add_f64 v[80:81], v[80:81], v[86:87]
	v_fma_f64 v[86:87], v[42:43], s[14:15], -v[82:83]
	v_fmac_f64_e32 v[82:83], s[14:15], v[42:43]
	v_fma_f64 v[76:77], v[40:41], s[14:15], -v[76:77]
	v_add_f64 v[72:73], v[82:83], v[72:73]
	v_mul_f64 v[82:83], v[26:27], s[8:9]
	v_add_f64 v[78:79], v[78:79], v[90:91]
	v_add_f64 v[76:77], v[76:77], v[84:85]
	v_fma_f64 v[84:85], s[20:21], v[40:41], v[82:83]
	v_mul_f64 v[90:91], v[24:25], s[8:9]
	v_add_f64 v[84:85], v[84:85], v[96:97]
	v_fma_f64 v[96:97], v[42:43], s[20:21], -v[90:91]
	v_fma_f64 v[82:83], v[40:41], s[20:21], -v[82:83]
	v_fmac_f64_e32 v[90:91], s[20:21], v[42:43]
	v_add_f64 v[82:83], v[82:83], v[88:89]
	v_add_f64 v[88:89], v[90:91], v[98:99]
	v_mul_f64 v[90:91], v[26:27], s[34:35]
	v_add_f64 v[86:87], v[86:87], v[102:103]
	v_fma_f64 v[98:99], s[36:37], v[40:41], v[90:91]
	v_mul_f64 v[102:103], v[24:25], s[34:35]
	v_add_f64 v[98:99], v[98:99], v[104:105]
	v_fma_f64 v[104:105], v[42:43], s[36:37], -v[102:103]
	v_fma_f64 v[90:91], v[40:41], s[36:37], -v[90:91]
	v_fmac_f64_e32 v[102:103], s[36:37], v[42:43]
	s_mov_b32 s57, 0x3fe9895b
	s_mov_b32 s56, s28
	v_add_f64 v[90:91], v[90:91], v[100:101]
	v_add_f64 v[100:101], v[102:103], v[106:107]
	v_mul_f64 v[102:103], v[26:27], s[56:57]
	v_fma_f64 v[106:107], s[30:31], v[40:41], v[102:103]
	v_add_f64 v[58:59], v[106:107], v[58:59]
	v_mul_f64 v[106:107], v[24:25], s[56:57]
	v_add_f64 v[96:97], v[96:97], v[116:117]
	v_fma_f64 v[116:117], v[42:43], s[30:31], -v[106:107]
	v_fma_f64 v[102:103], v[40:41], s[30:31], -v[102:103]
	v_fmac_f64_e32 v[106:107], s[30:31], v[42:43]
	v_mul_f64 v[24:25], v[24:25], s[54:55]
	v_add_f64 v[56:57], v[102:103], v[56:57]
	v_add_f64 v[102:103], v[106:107], v[112:113]
	v_mul_f64 v[26:27], v[26:27], s[54:55]
	v_fma_f64 v[112:113], v[42:43], s[18:19], -v[24:25]
	v_fmac_f64_e32 v[24:25], s[18:19], v[42:43]
	v_fma_f64 v[106:107], s[18:19], v[40:41], v[26:27]
	v_fma_f64 v[26:27], v[40:41], s[18:19], -v[26:27]
	v_add_f64 v[24:25], v[24:25], v[34:35]
	v_add_f64 v[34:35], v[38:39], v[18:19]
	v_add_f64 v[18:19], v[18:19], -v[38:39]
	v_add_f64 v[26:27], v[26:27], v[32:33]
	v_add_f64 v[32:33], v[36:37], v[16:17]
	v_add_f64 v[16:17], v[16:17], -v[36:37]
	v_mul_f64 v[36:37], v[18:19], s[24:25]
	v_fma_f64 v[38:39], s[26:27], v[32:33], v[36:37]
	v_mul_f64 v[40:41], v[16:17], s[24:25]
	v_fma_f64 v[36:37], v[32:33], s[26:27], -v[36:37]
	v_fma_f64 v[42:43], v[34:35], s[26:27], -v[40:41]
	v_add_f64 v[36:37], v[36:37], v[44:45]
	v_fmac_f64_e32 v[40:41], s[26:27], v[34:35]
	v_mul_f64 v[44:45], v[18:19], s[46:47]
	v_add_f64 v[38:39], v[38:39], v[46:47]
	v_add_f64 v[40:41], v[40:41], v[48:49]
	v_fma_f64 v[46:47], s[36:37], v[32:33], v[44:45]
	v_mul_f64 v[48:49], v[16:17], s[46:47]
	v_add_f64 v[42:43], v[42:43], v[60:61]
	v_add_f64 v[46:47], v[46:47], v[52:53]
	v_fma_f64 v[52:53], v[34:35], s[36:37], -v[48:49]
	v_fma_f64 v[44:45], v[32:33], s[36:37], -v[44:45]
	v_mul_f64 v[60:61], v[16:17], s[54:55]
	v_add_f64 v[52:53], v[52:53], v[64:65]
	v_add_f64 v[44:45], v[44:45], v[50:51]
	v_fmac_f64_e32 v[48:49], s[36:37], v[34:35]
	v_mul_f64 v[50:51], v[18:19], s[54:55]
	v_fma_f64 v[64:65], v[34:35], s[18:19], -v[60:61]
	v_fmac_f64_e32 v[60:61], s[18:19], v[34:35]
	v_add_f64 v[48:49], v[48:49], v[54:55]
	v_fma_f64 v[54:55], s[18:19], v[32:33], v[50:51]
	v_fma_f64 v[50:51], v[32:33], s[18:19], -v[50:51]
	v_add_f64 v[60:61], v[60:61], v[74:75]
	v_mul_f64 v[74:75], v[16:17], s[8:9]
	v_add_f64 v[64:65], v[64:65], v[78:79]
	v_add_f64 v[50:51], v[50:51], v[62:63]
	v_mul_f64 v[62:63], v[18:19], s[8:9]
	v_fma_f64 v[78:79], v[34:35], s[20:21], -v[74:75]
	v_fmac_f64_e32 v[74:75], s[20:21], v[34:35]
	v_add_f64 v[54:55], v[54:55], v[66:67]
	v_fma_f64 v[66:67], s[20:21], v[32:33], v[62:63]
	v_fma_f64 v[62:63], v[32:33], s[20:21], -v[62:63]
	v_add_f64 v[72:73], v[74:75], v[72:73]
	v_mul_f64 v[74:75], v[18:19], s[38:39]
	v_add_f64 v[62:63], v[62:63], v[76:77]
	v_fma_f64 v[76:77], s[40:41], v[32:33], v[74:75]
	v_fma_f64 v[74:75], v[32:33], s[40:41], -v[74:75]
	s_mov_b32 s59, 0x3fefdd0d
	s_mov_b32 s58, s12
	v_add_f64 v[74:75], v[74:75], v[82:83]
	v_mul_f64 v[82:83], v[18:19], s[58:59]
	v_add_f64 v[66:67], v[66:67], v[80:81]
	v_add_f64 v[78:79], v[78:79], v[86:87]
	v_mul_f64 v[80:81], v[16:17], s[38:39]
	v_fma_f64 v[86:87], s[22:23], v[32:33], v[82:83]
	v_fma_f64 v[82:83], v[32:33], s[22:23], -v[82:83]
	v_add_f64 v[76:77], v[76:77], v[84:85]
	v_fma_f64 v[84:85], v[34:35], s[40:41], -v[80:81]
	v_fmac_f64_e32 v[80:81], s[40:41], v[34:35]
	v_add_f64 v[82:83], v[82:83], v[90:91]
	v_mul_f64 v[90:91], v[18:19], s[2:3]
	v_add_f64 v[80:81], v[80:81], v[88:89]
	v_add_f64 v[86:87], v[86:87], v[98:99]
	v_mul_f64 v[88:89], v[16:17], s[58:59]
	v_fma_f64 v[98:99], s[14:15], v[32:33], v[90:91]
	v_add_f64 v[84:85], v[84:85], v[96:97]
	v_fma_f64 v[96:97], v[34:35], s[22:23], -v[88:89]
	v_fmac_f64_e32 v[88:89], s[22:23], v[34:35]
	v_add_f64 v[58:59], v[98:99], v[58:59]
	v_mul_f64 v[98:99], v[16:17], s[2:3]
	v_add_f64 v[88:89], v[88:89], v[100:101]
	v_fma_f64 v[100:101], v[34:35], s[14:15], -v[98:99]
	v_fma_f64 v[90:91], v[32:33], s[14:15], -v[90:91]
	v_fmac_f64_e32 v[98:99], s[14:15], v[34:35]
	v_mul_f64 v[18:19], v[18:19], s[28:29]
	v_add_f64 v[56:57], v[90:91], v[56:57]
	v_add_f64 v[90:91], v[98:99], v[102:103]
	v_fma_f64 v[98:99], s[30:31], v[32:33], v[18:19]
	v_mul_f64 v[16:17], v[16:17], s[28:29]
	v_fma_f64 v[18:19], v[32:33], s[30:31], -v[18:19]
	v_fma_f64 v[102:103], v[34:35], s[30:31], -v[16:17]
	v_add_f64 v[18:19], v[18:19], v[26:27]
	v_fmac_f64_e32 v[16:17], s[30:31], v[34:35]
	v_add_f64 v[26:27], v[30:31], v[14:15]
	v_add_f64 v[14:15], v[14:15], -v[30:31]
	v_add_f64 v[16:17], v[16:17], v[24:25]
	v_add_f64 v[24:25], v[28:29], v[12:13]
	v_add_f64 v[12:13], v[12:13], -v[28:29]
	v_mul_f64 v[28:29], v[14:15], s[28:29]
	v_fma_f64 v[30:31], s[30:31], v[24:25], v[28:29]
	v_fma_f64 v[28:29], v[24:25], s[30:31], -v[28:29]
	v_add_f64 v[28:29], v[28:29], v[36:37]
	v_mul_f64 v[36:37], v[14:15], s[44:45]
	v_add_f64 v[30:31], v[30:31], v[38:39]
	v_mul_f64 v[32:33], v[12:13], s[28:29]
	v_fma_f64 v[38:39], s[26:27], v[24:25], v[36:37]
	v_fma_f64 v[36:37], v[24:25], s[26:27], -v[36:37]
	v_fma_f64 v[34:35], v[26:27], s[30:31], -v[32:33]
	v_fmac_f64_e32 v[32:33], s[30:31], v[26:27]
	v_add_f64 v[36:37], v[36:37], v[44:45]
	v_mul_f64 v[44:45], v[14:15], s[2:3]
	v_add_f64 v[32:33], v[32:33], v[40:41]
	v_add_f64 v[38:39], v[38:39], v[46:47]
	v_mul_f64 v[40:41], v[12:13], s[44:45]
	v_fma_f64 v[46:47], s[14:15], v[24:25], v[44:45]
	v_fma_f64 v[44:45], v[24:25], s[14:15], -v[44:45]
	v_add_f64 v[34:35], v[34:35], v[42:43]
	v_fma_f64 v[42:43], v[26:27], s[26:27], -v[40:41]
	v_fmac_f64_e32 v[40:41], s[26:27], v[26:27]
	v_add_f64 v[44:45], v[44:45], v[50:51]
	v_mul_f64 v[50:51], v[14:15], s[34:35]
	v_add_f64 v[40:41], v[40:41], v[48:49]
	v_add_f64 v[46:47], v[46:47], v[54:55]
	v_mul_f64 v[48:49], v[12:13], s[2:3]
	v_fma_f64 v[54:55], s[36:37], v[24:25], v[50:51]
	v_fma_f64 v[50:51], v[24:25], s[36:37], -v[50:51]
	v_add_f64 v[42:43], v[42:43], v[52:53]
	;; [unrolled: 10-line block ×4, first 2 shown]
	v_fma_f64 v[76:77], v[26:27], s[22:23], -v[72:73]
	v_fmac_f64_e32 v[72:73], s[22:23], v[26:27]
	v_add_f64 v[74:75], v[74:75], v[82:83]
	v_mul_f64 v[82:83], v[14:15], s[38:39]
	v_add_f64 v[130:131], v[136:137], v[130:131]
	v_add_f64 v[128:129], v[128:129], v[134:135]
	;; [unrolled: 1-line block ×4, first 2 shown]
	v_mul_f64 v[80:81], v[12:13], s[6:7]
	v_fma_f64 v[86:87], s[40:41], v[24:25], v[82:83]
	v_add_f64 v[118:119], v[118:119], v[126:127]
	v_add_f64 v[122:123], v[122:123], v[130:131]
	;; [unrolled: 1-line block ×5, first 2 shown]
	v_fma_f64 v[84:85], v[26:27], s[18:19], -v[80:81]
	v_fmac_f64_e32 v[80:81], s[18:19], v[26:27]
	v_add_f64 v[58:59], v[86:87], v[58:59]
	v_mul_f64 v[86:87], v[12:13], s[38:39]
	v_fma_f64 v[82:83], v[24:25], s[40:41], -v[82:83]
	v_mul_f64 v[14:15], v[14:15], s[48:49]
	v_add_f64 v[104:105], v[104:105], v[118:119]
	v_add_f64 v[116:117], v[116:117], v[122:123]
	;; [unrolled: 1-line block ×5, first 2 shown]
	v_fma_f64 v[88:89], v[26:27], s[40:41], -v[86:87]
	v_add_f64 v[82:83], v[82:83], v[56:57]
	v_fmac_f64_e32 v[86:87], s[40:41], v[26:27]
	v_fma_f64 v[56:57], s[20:21], v[24:25], v[14:15]
	v_mul_f64 v[12:13], v[12:13], s[48:49]
	v_add_f64 v[96:97], v[96:97], v[104:105]
	v_add_f64 v[100:101], v[100:101], v[116:117]
	;; [unrolled: 1-line block ×5, first 2 shown]
	v_fma_f64 v[56:57], v[26:27], s[20:21], -v[12:13]
	v_fmac_f64_e32 v[12:13], s[20:21], v[26:27]
	v_add_f64 v[112:113], v[10:11], -v[22:23]
	v_add_f64 v[84:85], v[84:85], v[96:97]
	v_add_f64 v[88:89], v[88:89], v[100:101]
	;; [unrolled: 1-line block ×5, first 2 shown]
	v_mul_f64 v[12:13], v[112:113], s[34:35]
	v_add_f64 v[106:107], v[8:9], -v[20:21]
	v_fma_f64 v[8:9], s[36:37], v[102:103], v[12:13]
	v_fma_f64 v[12:13], v[102:103], s[36:37], -v[12:13]
	v_fma_f64 v[14:15], v[24:25], s[20:21], -v[14:15]
	v_add_f64 v[104:105], v[22:23], v[10:11]
	v_add_f64 v[8:9], v[8:9], v[30:31]
	;; [unrolled: 1-line block ×3, first 2 shown]
	v_mul_f64 v[20:21], v[112:113], s[48:49]
	v_mul_f64 v[28:29], v[112:113], s[12:13]
	;; [unrolled: 1-line block ×3, first 2 shown]
	v_add_f64 v[98:99], v[14:15], v[18:19]
	v_mul_f64 v[14:15], v[106:107], s[34:35]
	v_fma_f64 v[16:17], s[20:21], v[102:103], v[20:21]
	v_mul_f64 v[22:23], v[106:107], s[48:49]
	v_fma_f64 v[24:25], s[22:23], v[102:103], v[28:29]
	v_fma_f64 v[26:27], v[104:105], s[22:23], -v[30:31]
	v_fma_f64 v[10:11], v[104:105], s[36:37], -v[14:15]
	v_add_f64 v[16:17], v[16:17], v[38:39]
	v_fma_f64 v[18:19], v[104:105], s[20:21], -v[22:23]
	v_add_f64 v[24:25], v[24:25], v[46:47]
	v_add_f64 v[26:27], v[26:27], v[52:53]
	v_fma_f64 v[28:29], v[102:103], s[22:23], -v[28:29]
	v_fmac_f64_e32 v[30:31], s[22:23], v[104:105]
	v_mul_f64 v[38:39], v[106:107], s[56:57]
	v_mul_f64 v[46:47], v[106:107], s[2:3]
	;; [unrolled: 1-line block ×3, first 2 shown]
	v_add_f64 v[10:11], v[10:11], v[34:35]
	v_add_f64 v[18:19], v[18:19], v[42:43]
	v_fma_f64 v[20:21], v[102:103], s[20:21], -v[20:21]
	v_fmac_f64_e32 v[22:23], s[20:21], v[104:105]
	v_add_f64 v[28:29], v[28:29], v[44:45]
	v_add_f64 v[30:31], v[30:31], v[48:49]
	v_fma_f64 v[34:35], v[104:105], s[30:31], -v[38:39]
	v_fmac_f64_e32 v[38:39], s[30:31], v[104:105]
	v_mul_f64 v[44:45], v[112:113], s[2:3]
	v_fma_f64 v[42:43], v[104:105], s[14:15], -v[46:47]
	v_fmac_f64_e32 v[46:47], s[14:15], v[104:105]
	v_fma_f64 v[48:49], s[40:41], v[102:103], v[52:53]
	v_fma_f64 v[52:53], v[102:103], s[40:41], -v[52:53]
	v_fmac_f64_e32 v[14:15], s[36:37], v[104:105]
	v_add_f64 v[20:21], v[20:21], v[36:37]
	v_add_f64 v[22:23], v[22:23], v[40:41]
	v_mul_f64 v[36:37], v[112:113], s[56:57]
	v_add_f64 v[38:39], v[38:39], v[60:61]
	v_fma_f64 v[40:41], s[14:15], v[102:103], v[44:45]
	v_add_f64 v[46:47], v[46:47], v[72:73]
	v_add_f64 v[52:53], v[52:53], v[74:75]
	v_mul_f64 v[60:61], v[112:113], s[54:55]
	v_mul_f64 v[72:73], v[112:113], s[24:25]
	;; [unrolled: 1-line block ×3, first 2 shown]
	v_add_f64 v[14:15], v[14:15], v[32:33]
	v_fma_f64 v[32:33], s[30:31], v[102:103], v[36:37]
	v_add_f64 v[34:35], v[34:35], v[64:65]
	v_fma_f64 v[36:37], v[102:103], s[30:31], -v[36:37]
	v_add_f64 v[40:41], v[40:41], v[66:67]
	v_fma_f64 v[44:45], v[102:103], s[14:15], -v[44:45]
	v_fma_f64 v[56:57], s[18:19], v[102:103], v[60:61]
	v_fma_f64 v[60:61], v[102:103], s[18:19], -v[60:61]
	v_fma_f64 v[64:65], s[26:27], v[102:103], v[72:73]
	v_fma_f64 v[66:67], v[104:105], s[26:27], -v[74:75]
	v_fma_f64 v[72:73], v[102:103], s[26:27], -v[72:73]
	v_fmac_f64_e32 v[74:75], s[26:27], v[104:105]
	v_add_f64 v[102:103], v[2:3], -v[6:7]
	v_add_f64 v[66:67], v[66:67], v[96:97]
	v_add_f64 v[74:75], v[74:75], v[100:101]
	;; [unrolled: 1-line block ×3, first 2 shown]
	v_add_f64 v[100:101], v[0:1], -v[4:5]
	v_mul_f64 v[0:1], v[102:103], s[38:39]
	v_add_f64 v[32:33], v[32:33], v[54:55]
	v_add_f64 v[44:45], v[44:45], v[62:63]
	v_mul_f64 v[54:55], v[106:107], s[38:39]
	v_mul_f64 v[62:63], v[106:107], s[54:55]
	v_add_f64 v[72:73], v[72:73], v[98:99]
	v_add_f64 v[98:99], v[6:7], v[2:3]
	v_fma_f64 v[2:3], s[40:41], v[96:97], v[0:1]
	v_add_f64 v[36:37], v[36:37], v[50:51]
	v_fma_f64 v[50:51], v[104:105], s[40:41], -v[54:55]
	v_fmac_f64_e32 v[54:55], s[40:41], v[104:105]
	v_add_f64 v[56:57], v[56:57], v[58:59]
	v_fma_f64 v[58:59], v[104:105], s[18:19], -v[62:63]
	v_fmac_f64_e32 v[62:63], s[18:19], v[104:105]
	v_add_f64 v[104:105], v[2:3], v[8:9]
	v_mul_f64 v[2:3], v[100:101], s[38:39]
	v_fma_f64 v[4:5], v[98:99], s[40:41], -v[2:3]
	v_fmac_f64_e32 v[2:3], s[40:41], v[98:99]
	v_add_f64 v[42:43], v[42:43], v[76:77]
	v_add_f64 v[76:77], v[2:3], v[14:15]
	v_mul_f64 v[2:3], v[102:103], s[50:51]
	v_add_f64 v[58:59], v[58:59], v[88:89]
	v_add_f64 v[88:89], v[4:5], v[10:11]
	v_fma_f64 v[4:5], s[14:15], v[96:97], v[2:3]
	v_add_f64 v[60:61], v[60:61], v[82:83]
	v_add_f64 v[82:83], v[4:5], v[16:17]
	v_mul_f64 v[4:5], v[100:101], s[50:51]
	v_fma_f64 v[6:7], v[98:99], s[14:15], -v[4:5]
	v_fmac_f64_e32 v[4:5], s[14:15], v[98:99]
	v_add_f64 v[48:49], v[48:49], v[78:79]
	v_add_f64 v[78:79], v[4:5], v[22:23]
	v_mul_f64 v[4:5], v[102:103], s[34:35]
	v_add_f64 v[50:51], v[50:51], v[84:85]
	v_add_f64 v[84:85], v[6:7], v[18:19]
	v_fma_f64 v[6:7], s[36:37], v[96:97], v[4:5]
	v_add_f64 v[64:65], v[64:65], v[90:91]
	v_add_f64 v[90:91], v[6:7], v[24:25]
	v_mul_f64 v[6:7], v[100:101], s[34:35]
	v_fma_f64 v[8:9], v[98:99], s[36:37], -v[6:7]
	v_fmac_f64_e32 v[6:7], s[36:37], v[98:99]
	v_add_f64 v[24:25], v[6:7], v[30:31]
	v_mul_f64 v[6:7], v[102:103], s[54:55]
	v_add_f64 v[62:63], v[62:63], v[86:87]
	v_add_f64 v[86:87], v[8:9], v[26:27]
	v_fma_f64 v[8:9], s[18:19], v[96:97], v[6:7]
	v_add_f64 v[22:23], v[8:9], v[32:33]
	v_mul_f64 v[8:9], v[100:101], s[54:55]
	v_fma_f64 v[10:11], v[98:99], s[18:19], -v[8:9]
	v_fmac_f64_e32 v[8:9], s[18:19], v[98:99]
	v_add_f64 v[26:27], v[8:9], v[38:39]
	v_mul_f64 v[8:9], v[102:103], s[28:29]
	v_add_f64 v[30:31], v[10:11], v[34:35]
	v_fma_f64 v[10:11], s[30:31], v[96:97], v[8:9]
	v_add_f64 v[54:55], v[54:55], v[80:81]
	v_fma_f64 v[0:1], v[96:97], s[40:41], -v[0:1]
	v_add_f64 v[80:81], v[10:11], v[40:41]
	v_mul_f64 v[10:11], v[100:101], s[28:29]
	v_add_f64 v[0:1], v[0:1], v[12:13]
	v_fma_f64 v[4:5], v[96:97], s[36:37], -v[4:5]
	v_fma_f64 v[12:13], v[98:99], s[30:31], -v[10:11]
	v_fmac_f64_e32 v[10:11], s[30:31], v[98:99]
	v_add_f64 v[4:5], v[4:5], v[28:29]
	v_add_f64 v[28:29], v[10:11], v[46:47]
	v_mul_f64 v[10:11], v[102:103], s[48:49]
	v_add_f64 v[34:35], v[12:13], v[42:43]
	v_fma_f64 v[12:13], s[20:21], v[96:97], v[10:11]
	v_add_f64 v[18:19], v[12:13], v[48:49]
	v_mul_f64 v[12:13], v[100:101], s[48:49]
	v_fma_f64 v[14:15], v[98:99], s[20:21], -v[12:13]
	v_fmac_f64_e32 v[12:13], s[20:21], v[98:99]
	v_fma_f64 v[6:7], v[96:97], s[18:19], -v[6:7]
	v_add_f64 v[32:33], v[12:13], v[54:55]
	v_mul_f64 v[12:13], v[102:103], s[24:25]
	v_fma_f64 v[2:3], v[96:97], s[14:15], -v[2:3]
	v_add_f64 v[6:7], v[6:7], v[36:37]
	v_add_f64 v[36:37], v[14:15], v[50:51]
	v_fma_f64 v[14:15], s[26:27], v[96:97], v[12:13]
	v_add_f64 v[2:3], v[2:3], v[20:21]
	v_add_f64 v[20:21], v[14:15], v[56:57]
	v_mul_f64 v[14:15], v[100:101], s[24:25]
	v_fma_f64 v[16:17], v[98:99], s[26:27], -v[14:15]
	s_movk_i32 s0, 0x88
	v_fma_f64 v[8:9], v[96:97], s[30:31], -v[8:9]
	v_add_f64 v[40:41], v[16:17], v[58:59]
	v_fmac_f64_e32 v[14:15], s[26:27], v[98:99]
	v_mul_f64 v[16:17], v[102:103], s[58:59]
	v_mad_u32_u24 v113, v108, s0, 0
	v_lshlrev_b32_e32 v114, 7, v108
	v_add_f64 v[8:9], v[8:9], v[44:45]
	v_fma_f64 v[10:11], v[96:97], s[20:21], -v[10:11]
	v_fma_f64 v[12:13], v[96:97], s[26:27], -v[12:13]
	v_add_f64 v[38:39], v[14:15], v[62:63]
	v_fma_f64 v[14:15], s[22:23], v[96:97], v[16:17]
	v_mul_f64 v[44:45], v[100:101], s[58:59]
	v_fma_f64 v[16:17], v[96:97], s[22:23], -v[16:17]
	v_sub_u32_e32 v115, v113, v114
	v_add_f64 v[10:11], v[10:11], v[52:53]
	v_add_f64 v[12:13], v[12:13], v[60:61]
	;; [unrolled: 1-line block ×3, first 2 shown]
	v_fma_f64 v[42:43], v[98:99], s[22:23], -v[44:45]
	v_add_f64 v[16:17], v[16:17], v[72:73]
	v_fmac_f64_e32 v[44:45], s[22:23], v[98:99]
	v_lshl_add_u32 v112, v110, 3, 0
	v_add_u32_e32 v116, 0x800, v115
	v_add_u32_e32 v124, 0xc00, v115
	;; [unrolled: 1-line block ×7, first 2 shown]
	s_movk_i32 s0, 0xf1
	s_load_dwordx2 s[42:43], s[42:43], 0x0
	v_add_f64 v[42:43], v[42:43], v[66:67]
	v_add_f64 v[44:45], v[44:45], v[74:75]
	ds_write2_b64 v113, v[70:71], v[104:105] offset1:1
	ds_write2_b64 v113, v[82:83], v[90:91] offset0:2 offset1:3
	ds_write2_b64 v113, v[22:23], v[80:81] offset0:4 offset1:5
	ds_write2_b64 v113, v[18:19], v[20:21] offset0:6 offset1:7
	ds_write2_b64 v113, v[14:15], v[16:17] offset0:8 offset1:9
	ds_write2_b64 v113, v[12:13], v[10:11] offset0:10 offset1:11
	ds_write2_b64 v113, v[8:9], v[6:7] offset0:12 offset1:13
	ds_write2_b64 v113, v[4:5], v[2:3] offset0:14 offset1:15
	ds_write_b64 v113, v[0:1] offset:128
	s_waitcnt lgkmcnt(0)
	s_barrier
	ds_read_b64 v[102:103], v112
	v_lshl_add_u32 v111, v109, 3, 0
	ds_read_b64 v[96:97], v115
	ds_read_b64 v[100:101], v111
	ds_read2_b64 v[80:83], v116 offset0:50 offset1:152
	ds_read2_b64 v[20:23], v124 offset0:126 offset1:228
	;; [unrolled: 1-line block ×7, first 2 shown]
	s_waitcnt lgkmcnt(0)
	s_barrier
	ds_write2_b64 v113, v[68:69], v[88:89] offset1:1
	ds_write2_b64 v113, v[84:85], v[86:87] offset0:2 offset1:3
	ds_write2_b64 v113, v[30:31], v[34:35] offset0:4 offset1:5
	;; [unrolled: 1-line block ×7, first 2 shown]
	ds_write_b64 v113, v[76:77] offset:128
	v_mul_lo_u16_sdwa v24, v108, s0 dst_sel:DWORD dst_unused:UNUSED_PAD src0_sel:BYTE_0 src1_sel:DWORD
	v_lshrrev_b16_e32 v121, 12, v24
	v_mul_lo_u16_e32 v24, 17, v121
	v_sub_u16_e32 v120, v108, v24
	v_mov_b32_e32 v24, 8
	v_lshlrev_b32_sdwa v64, v24, v120 dst_sel:DWORD dst_unused:UNUSED_PAD src0_sel:DWORD src1_sel:BYTE_0
	s_waitcnt lgkmcnt(0)
	s_barrier
	global_load_dwordx4 v[88:91], v64, s[4:5] offset:32
	global_load_dwordx4 v[84:87], v64, s[4:5] offset:48
	global_load_dwordx4 v[28:31], v64, s[4:5]
	global_load_dwordx4 v[24:27], v64, s[4:5] offset:16
	global_load_dwordx4 v[44:47], v64, s[4:5] offset:64
	;; [unrolled: 1-line block ×12, first 2 shown]
	s_nop 0
	global_load_dwordx4 v[64:67], v64, s[4:5] offset:240
	ds_read2_b64 v[126:129], v116 offset0:50 offset1:152
	ds_read_b64 v[106:107], v112
	s_movk_i32 s0, 0x55
	v_cmp_gt_u32_e64 s[0:1], s0, v108
	s_waitcnt vmcnt(15) lgkmcnt(1)
	v_mul_f64 v[98:99], v[126:127], v[90:91]
	v_fmac_f64_e32 v[98:99], v[80:81], v[88:89]
	v_mul_f64 v[80:81], v[80:81], v[90:91]
	v_fma_f64 v[88:89], v[126:127], v[88:89], -v[80:81]
	s_waitcnt vmcnt(14)
	v_mul_f64 v[80:81], v[128:129], v[86:87]
	v_fmac_f64_e32 v[80:81], v[82:83], v[84:85]
	v_mul_f64 v[82:83], v[82:83], v[86:87]
	v_fma_f64 v[82:83], v[128:129], v[84:85], -v[82:83]
	ds_read_b64 v[84:85], v111
	ds_read_b64 v[90:91], v115
	s_waitcnt vmcnt(13) lgkmcnt(2)
	v_mul_f64 v[104:105], v[106:107], v[30:31]
	v_mul_f64 v[30:31], v[102:103], v[30:31]
	v_fmac_f64_e32 v[104:105], v[102:103], v[28:29]
	v_fma_f64 v[106:107], v[106:107], v[28:29], -v[30:31]
	ds_read2_b64 v[28:31], v124 offset0:126 offset1:228
	s_waitcnt vmcnt(12) lgkmcnt(2)
	v_mul_f64 v[102:103], v[84:85], v[26:27]
	v_mul_f64 v[26:27], v[100:101], v[26:27]
	v_fmac_f64_e32 v[102:103], v[100:101], v[24:25]
	v_fma_f64 v[100:101], v[84:85], v[24:25], -v[26:27]
	ds_read2_b64 v[24:27], v123 offset0:74 offset1:176
	s_waitcnt vmcnt(11) lgkmcnt(1)
	v_mul_f64 v[84:85], v[28:29], v[46:47]
	v_fmac_f64_e32 v[84:85], v[20:21], v[44:45]
	v_mul_f64 v[20:21], v[20:21], v[46:47]
	v_fma_f64 v[46:47], v[28:29], v[44:45], -v[20:21]
	s_waitcnt vmcnt(10)
	v_mul_f64 v[44:45], v[30:31], v[42:43]
	v_mul_f64 v[20:21], v[22:23], v[42:43]
	s_waitcnt vmcnt(9) lgkmcnt(0)
	v_mul_f64 v[28:29], v[24:25], v[38:39]
	v_fmac_f64_e32 v[44:45], v[22:23], v[40:41]
	v_fma_f64 v[40:41], v[30:31], v[40:41], -v[20:21]
	v_fmac_f64_e32 v[28:29], v[16:17], v[36:37]
	v_mul_f64 v[16:17], v[16:17], v[38:39]
	s_waitcnt vmcnt(8)
	v_mul_f64 v[20:21], v[26:27], v[34:35]
	v_fma_f64 v[30:31], v[24:25], v[36:37], -v[16:17]
	v_fmac_f64_e32 v[20:21], v[18:19], v[32:33]
	v_mul_f64 v[22:23], v[18:19], v[34:35]
	ds_read2_b64 v[16:19], v122 offset0:46 offset1:148
	ds_read2_b64 v[132:135], v119 offset0:122 offset1:224
	;; [unrolled: 1-line block ×4, first 2 shown]
	v_fma_f64 v[22:23], v[26:27], v[32:33], -v[22:23]
	s_waitcnt vmcnt(3) lgkmcnt(3)
	v_mul_f64 v[86:87], v[16:17], v[78:79]
	v_fmac_f64_e32 v[86:87], v[0:1], v[76:77]
	v_mul_f64 v[0:1], v[0:1], v[78:79]
	v_fma_f64 v[76:77], v[16:17], v[76:77], -v[0:1]
	s_waitcnt vmcnt(2)
	v_mul_f64 v[78:79], v[18:19], v[74:75]
	v_mul_f64 v[0:1], v[2:3], v[74:75]
	v_fmac_f64_e32 v[78:79], v[2:3], v[72:73]
	v_fma_f64 v[72:73], v[18:19], v[72:73], -v[0:1]
	s_waitcnt vmcnt(1) lgkmcnt(2)
	v_mul_f64 v[74:75], v[132:133], v[70:71]
	v_mul_f64 v[0:1], v[4:5], v[70:71]
	s_waitcnt lgkmcnt(1)
	v_mul_f64 v[24:25], v[124:125], v[62:63]
	s_waitcnt lgkmcnt(0)
	v_mul_f64 v[36:37], v[128:129], v[54:55]
	v_fmac_f64_e32 v[74:75], v[4:5], v[68:69]
	v_fma_f64 v[68:69], v[132:133], v[68:69], -v[0:1]
	s_waitcnt vmcnt(0)
	v_mul_f64 v[0:1], v[6:7], v[66:67]
	v_fmac_f64_e32 v[24:25], v[12:13], v[60:61]
	v_mul_f64 v[12:13], v[12:13], v[62:63]
	v_fmac_f64_e32 v[36:37], v[8:9], v[52:53]
	v_mul_f64 v[8:9], v[8:9], v[54:55]
	v_mul_f64 v[70:71], v[134:135], v[66:67]
	v_fma_f64 v[66:67], v[134:135], v[64:65], -v[0:1]
	v_fma_f64 v[26:27], v[124:125], v[60:61], -v[12:13]
	v_mul_f64 v[12:13], v[14:15], v[58:59]
	v_fma_f64 v[38:39], v[128:129], v[52:53], -v[8:9]
	v_mul_f64 v[42:43], v[130:131], v[50:51]
	v_mul_f64 v[8:9], v[10:11], v[50:51]
	v_fmac_f64_e32 v[70:71], v[6:7], v[64:65]
	v_add_f64 v[2:3], v[106:107], -v[66:67]
	v_mul_f64 v[32:33], v[126:127], v[58:59]
	v_fma_f64 v[34:35], v[126:127], v[56:57], -v[12:13]
	v_fmac_f64_e32 v[42:43], v[10:11], v[48:49]
	v_fma_f64 v[48:49], v[130:131], v[48:49], -v[8:9]
	v_add_f64 v[0:1], v[104:105], v[70:71]
	v_mul_f64 v[4:5], v[2:3], s[2:3]
	v_mul_f64 v[8:9], v[2:3], s[6:7]
	;; [unrolled: 1-line block ×8, first 2 shown]
	v_add_f64 v[64:65], v[100:101], -v[68:69]
	v_fmac_f64_e32 v[32:33], v[14:15], v[56:57]
	v_fma_f64 v[6:7], s[14:15], v[0:1], v[4:5]
	v_fma_f64 v[4:5], v[0:1], s[14:15], -v[4:5]
	v_fma_f64 v[10:11], s[18:19], v[0:1], v[8:9]
	v_fma_f64 v[8:9], v[0:1], s[18:19], -v[8:9]
	;; [unrolled: 2-line block ×8, first 2 shown]
	v_add_f64 v[2:3], v[102:103], v[74:75]
	v_mul_f64 v[122:123], v[64:65], s[6:7]
	v_fma_f64 v[124:125], s[18:19], v[2:3], v[122:123]
	v_add_f64 v[4:5], v[96:97], v[4:5]
	v_fma_f64 v[122:123], v[2:3], s[18:19], -v[122:123]
	v_add_f64 v[6:7], v[96:97], v[6:7]
	v_add_f64 v[4:5], v[122:123], v[4:5]
	v_mul_f64 v[122:123], v[64:65], s[12:13]
	v_add_f64 v[6:7], v[124:125], v[6:7]
	v_fma_f64 v[124:125], s[22:23], v[2:3], v[122:123]
	v_add_f64 v[8:9], v[96:97], v[8:9]
	v_fma_f64 v[122:123], v[2:3], s[22:23], -v[122:123]
	v_add_f64 v[10:11], v[96:97], v[10:11]
	v_add_f64 v[8:9], v[122:123], v[8:9]
	v_mul_f64 v[122:123], v[64:65], s[28:29]
	v_add_f64 v[10:11], v[124:125], v[10:11]
	v_fma_f64 v[124:125], s[30:31], v[2:3], v[122:123]
	v_add_f64 v[12:13], v[96:97], v[12:13]
	v_fma_f64 v[122:123], v[2:3], s[30:31], -v[122:123]
	v_add_f64 v[14:15], v[96:97], v[14:15]
	v_add_f64 v[12:13], v[122:123], v[12:13]
	v_mul_f64 v[122:123], v[64:65], s[38:39]
	v_add_f64 v[14:15], v[124:125], v[14:15]
	v_fma_f64 v[124:125], s[40:41], v[2:3], v[122:123]
	v_add_f64 v[16:17], v[96:97], v[16:17]
	v_fma_f64 v[122:123], v[2:3], s[40:41], -v[122:123]
	v_add_f64 v[18:19], v[96:97], v[18:19]
	v_add_f64 v[16:17], v[122:123], v[16:17]
	v_mul_f64 v[122:123], v[64:65], s[46:47]
	v_add_f64 v[18:19], v[124:125], v[18:19]
	v_fma_f64 v[124:125], s[36:37], v[2:3], v[122:123]
	v_add_f64 v[50:51], v[96:97], v[50:51]
	v_fma_f64 v[122:123], v[2:3], s[36:37], -v[122:123]
	v_add_f64 v[52:53], v[96:97], v[52:53]
	v_add_f64 v[50:51], v[122:123], v[50:51]
	v_mul_f64 v[122:123], v[64:65], s[44:45]
	v_add_f64 v[52:53], v[124:125], v[52:53]
	v_fma_f64 v[124:125], s[26:27], v[2:3], v[122:123]
	v_add_f64 v[54:55], v[96:97], v[54:55]
	v_fma_f64 v[122:123], v[2:3], s[26:27], -v[122:123]
	v_add_f64 v[56:57], v[96:97], v[56:57]
	v_add_f64 v[54:55], v[122:123], v[54:55]
	v_mul_f64 v[122:123], v[64:65], s[48:49]
	v_add_f64 v[56:57], v[124:125], v[56:57]
	v_fma_f64 v[124:125], s[20:21], v[2:3], v[122:123]
	v_add_f64 v[58:59], v[96:97], v[58:59]
	v_fma_f64 v[122:123], v[2:3], s[20:21], -v[122:123]
	v_mul_f64 v[64:65], v[64:65], s[50:51]
	v_add_f64 v[58:59], v[122:123], v[58:59]
	v_add_f64 v[62:63], v[96:97], v[62:63]
	v_fma_f64 v[122:123], s[14:15], v[2:3], v[64:65]
	v_add_f64 v[0:1], v[96:97], v[0:1]
	v_fma_f64 v[2:3], v[2:3], s[14:15], -v[64:65]
	v_add_f64 v[64:65], v[88:89], -v[72:73]
	v_add_f64 v[60:61], v[96:97], v[60:61]
	v_add_f64 v[62:63], v[122:123], v[62:63]
	;; [unrolled: 1-line block ×4, first 2 shown]
	v_mul_f64 v[122:123], v[64:65], s[8:9]
	v_add_f64 v[60:61], v[124:125], v[60:61]
	v_fma_f64 v[124:125], s[20:21], v[2:3], v[122:123]
	v_fma_f64 v[122:123], v[2:3], s[20:21], -v[122:123]
	v_add_f64 v[4:5], v[122:123], v[4:5]
	v_mul_f64 v[122:123], v[64:65], s[28:29]
	v_add_f64 v[6:7], v[124:125], v[6:7]
	v_fma_f64 v[124:125], s[30:31], v[2:3], v[122:123]
	v_fma_f64 v[122:123], v[2:3], s[30:31], -v[122:123]
	v_add_f64 v[8:9], v[122:123], v[8:9]
	v_mul_f64 v[122:123], v[64:65], s[52:53]
	v_add_f64 v[10:11], v[124:125], v[10:11]
	v_fma_f64 v[124:125], s[40:41], v[2:3], v[122:123]
	v_fma_f64 v[122:123], v[2:3], s[40:41], -v[122:123]
	v_add_f64 v[12:13], v[122:123], v[12:13]
	v_mul_f64 v[122:123], v[64:65], s[44:45]
	v_add_f64 v[14:15], v[124:125], v[14:15]
	v_fma_f64 v[124:125], s[26:27], v[2:3], v[122:123]
	v_fma_f64 v[122:123], v[2:3], s[26:27], -v[122:123]
	v_add_f64 v[16:17], v[122:123], v[16:17]
	v_mul_f64 v[122:123], v[64:65], s[54:55]
	v_add_f64 v[18:19], v[124:125], v[18:19]
	v_fma_f64 v[124:125], s[18:19], v[2:3], v[122:123]
	v_fma_f64 v[122:123], v[2:3], s[18:19], -v[122:123]
	v_add_f64 v[50:51], v[122:123], v[50:51]
	v_mul_f64 v[122:123], v[64:65], s[2:3]
	v_add_f64 v[52:53], v[124:125], v[52:53]
	v_fma_f64 v[124:125], s[14:15], v[2:3], v[122:123]
	v_fma_f64 v[122:123], v[2:3], s[14:15], -v[122:123]
	v_add_f64 v[54:55], v[122:123], v[54:55]
	v_mul_f64 v[122:123], v[64:65], s[12:13]
	v_add_f64 v[56:57], v[124:125], v[56:57]
	v_fma_f64 v[124:125], s[22:23], v[2:3], v[122:123]
	v_fma_f64 v[122:123], v[2:3], s[22:23], -v[122:123]
	v_mul_f64 v[64:65], v[64:65], s[34:35]
	v_add_f64 v[58:59], v[122:123], v[58:59]
	v_fma_f64 v[122:123], s[36:37], v[2:3], v[64:65]
	v_fma_f64 v[2:3], v[2:3], s[36:37], -v[64:65]
	v_add_f64 v[64:65], v[82:83], -v[76:77]
	v_add_f64 v[62:63], v[122:123], v[62:63]
	v_add_f64 v[0:1], v[2:3], v[0:1]
	v_add_f64 v[2:3], v[80:81], v[86:87]
	v_mul_f64 v[122:123], v[64:65], s[12:13]
	v_add_f64 v[60:61], v[124:125], v[60:61]
	v_fma_f64 v[124:125], s[22:23], v[2:3], v[122:123]
	v_fma_f64 v[122:123], v[2:3], s[22:23], -v[122:123]
	v_add_f64 v[4:5], v[122:123], v[4:5]
	v_mul_f64 v[122:123], v[64:65], s[38:39]
	v_add_f64 v[6:7], v[124:125], v[6:7]
	v_fma_f64 v[124:125], s[40:41], v[2:3], v[122:123]
	v_fma_f64 v[122:123], v[2:3], s[40:41], -v[122:123]
	v_add_f64 v[8:9], v[122:123], v[8:9]
	v_mul_f64 v[122:123], v[64:65], s[44:45]
	v_add_f64 v[10:11], v[124:125], v[10:11]
	v_fma_f64 v[124:125], s[26:27], v[2:3], v[122:123]
	v_fma_f64 v[122:123], v[2:3], s[26:27], -v[122:123]
	v_add_f64 v[12:13], v[122:123], v[12:13]
	v_mul_f64 v[122:123], v[64:65], s[50:51]
	v_add_f64 v[14:15], v[124:125], v[14:15]
	v_fma_f64 v[124:125], s[14:15], v[2:3], v[122:123]
	v_fma_f64 v[122:123], v[2:3], s[14:15], -v[122:123]
	v_add_f64 v[16:17], v[122:123], v[16:17]
	v_mul_f64 v[122:123], v[64:65], s[8:9]
	v_add_f64 v[18:19], v[124:125], v[18:19]
	v_fma_f64 v[124:125], s[20:21], v[2:3], v[122:123]
	v_fma_f64 v[122:123], v[2:3], s[20:21], -v[122:123]
	v_add_f64 v[50:51], v[122:123], v[50:51]
	v_mul_f64 v[122:123], v[64:65], s[34:35]
	v_add_f64 v[52:53], v[124:125], v[52:53]
	v_fma_f64 v[124:125], s[36:37], v[2:3], v[122:123]
	v_fma_f64 v[122:123], v[2:3], s[36:37], -v[122:123]
	v_add_f64 v[54:55], v[122:123], v[54:55]
	v_mul_f64 v[122:123], v[64:65], s[56:57]
	v_add_f64 v[56:57], v[124:125], v[56:57]
	v_fma_f64 v[124:125], s[30:31], v[2:3], v[122:123]
	v_fma_f64 v[122:123], v[2:3], s[30:31], -v[122:123]
	v_mul_f64 v[64:65], v[64:65], s[54:55]
	v_add_f64 v[58:59], v[122:123], v[58:59]
	v_fma_f64 v[122:123], s[18:19], v[2:3], v[64:65]
	v_fma_f64 v[2:3], v[2:3], s[18:19], -v[64:65]
	v_add_f64 v[64:65], v[46:47], -v[48:49]
	v_add_f64 v[62:63], v[122:123], v[62:63]
	v_add_f64 v[0:1], v[2:3], v[0:1]
	v_add_f64 v[2:3], v[84:85], v[42:43]
	;; [unrolled: 42-line block ×4, first 2 shown]
	v_mul_f64 v[122:123], v[64:65], s[34:35]
	v_add_f64 v[60:61], v[124:125], v[60:61]
	v_fma_f64 v[124:125], s[36:37], v[2:3], v[122:123]
	v_fma_f64 v[122:123], v[2:3], s[36:37], -v[122:123]
	v_add_f64 v[4:5], v[122:123], v[4:5]
	v_mul_f64 v[122:123], v[64:65], s[48:49]
	v_add_f64 v[6:7], v[124:125], v[6:7]
	v_fma_f64 v[124:125], s[20:21], v[2:3], v[122:123]
	v_fma_f64 v[122:123], v[2:3], s[20:21], -v[122:123]
	v_add_f64 v[8:9], v[122:123], v[8:9]
	v_mul_f64 v[122:123], v[64:65], s[12:13]
	v_add_f64 v[10:11], v[124:125], v[10:11]
	v_fma_f64 v[124:125], s[22:23], v[2:3], v[122:123]
	v_fma_f64 v[122:123], v[2:3], s[22:23], -v[122:123]
	v_add_f64 v[12:13], v[122:123], v[12:13]
	v_mul_f64 v[122:123], v[64:65], s[56:57]
	v_add_f64 v[14:15], v[124:125], v[14:15]
	v_fma_f64 v[124:125], s[30:31], v[2:3], v[122:123]
	v_fma_f64 v[122:123], v[2:3], s[30:31], -v[122:123]
	v_add_f64 v[16:17], v[122:123], v[16:17]
	v_mul_f64 v[122:123], v[64:65], s[2:3]
	v_add_f64 v[18:19], v[124:125], v[18:19]
	v_fma_f64 v[124:125], s[14:15], v[2:3], v[122:123]
	v_add_f64 v[124:125], v[124:125], v[52:53]
	v_fma_f64 v[52:53], v[2:3], s[14:15], -v[122:123]
	v_add_f64 v[50:51], v[52:53], v[50:51]
	v_mul_f64 v[52:53], v[64:65], s[38:39]
	v_fma_f64 v[122:123], s[40:41], v[2:3], v[52:53]
	v_fma_f64 v[52:53], v[2:3], s[40:41], -v[52:53]
	v_add_f64 v[126:127], v[52:53], v[54:55]
	v_mul_f64 v[52:53], v[64:65], s[54:55]
	v_fma_f64 v[54:55], s[18:19], v[2:3], v[52:53]
	v_fma_f64 v[52:53], v[2:3], s[18:19], -v[52:53]
	v_add_f64 v[128:129], v[52:53], v[58:59]
	v_mul_f64 v[52:53], v[64:65], s[24:25]
	v_add_f64 v[60:61], v[54:55], v[60:61]
	v_fma_f64 v[54:55], s[26:27], v[2:3], v[52:53]
	v_fma_f64 v[2:3], v[2:3], s[26:27], -v[52:53]
	v_add_f64 v[132:133], v[22:23], -v[26:27]
	v_add_f64 v[64:65], v[2:3], v[0:1]
	v_add_f64 v[130:131], v[20:21], v[24:25]
	v_mul_f64 v[0:1], v[132:133], s[38:39]
	v_fma_f64 v[2:3], s[40:41], v[130:131], v[0:1]
	v_fma_f64 v[0:1], v[130:131], s[40:41], -v[0:1]
	v_add_f64 v[52:53], v[0:1], v[4:5]
	v_mul_f64 v[0:1], v[132:133], s[50:51]
	v_add_f64 v[134:135], v[2:3], v[6:7]
	v_fma_f64 v[2:3], s[14:15], v[130:131], v[0:1]
	v_fma_f64 v[0:1], v[130:131], s[14:15], -v[0:1]
	v_add_f64 v[62:63], v[54:55], v[62:63]
	v_add_f64 v[54:55], v[0:1], v[8:9]
	v_mul_f64 v[0:1], v[132:133], s[34:35]
	v_add_f64 v[10:11], v[2:3], v[10:11]
	v_fma_f64 v[2:3], s[36:37], v[130:131], v[0:1]
	v_fma_f64 v[0:1], v[130:131], s[36:37], -v[0:1]
	v_add_f64 v[58:59], v[0:1], v[12:13]
	v_mul_f64 v[0:1], v[132:133], s[54:55]
	v_add_f64 v[8:9], v[2:3], v[14:15]
	v_fma_f64 v[2:3], s[18:19], v[130:131], v[0:1]
	v_fma_f64 v[0:1], v[130:131], s[18:19], -v[0:1]
	v_add_f64 v[122:123], v[122:123], v[56:57]
	v_add_f64 v[56:57], v[0:1], v[16:17]
	v_mul_f64 v[0:1], v[132:133], s[28:29]
	v_add_f64 v[12:13], v[2:3], v[18:19]
	v_fma_f64 v[2:3], s[30:31], v[130:131], v[0:1]
	v_fma_f64 v[0:1], v[130:131], s[30:31], -v[0:1]
	v_add_f64 v[50:51], v[0:1], v[50:51]
	v_mul_f64 v[0:1], v[132:133], s[48:49]
	v_add_f64 v[14:15], v[2:3], v[124:125]
	v_fma_f64 v[2:3], s[20:21], v[130:131], v[0:1]
	v_add_f64 v[16:17], v[2:3], v[122:123]
	v_mul_f64 v[2:3], v[132:133], s[24:25]
	v_fma_f64 v[4:5], s[26:27], v[130:131], v[2:3]
	v_add_f64 v[18:19], v[4:5], v[60:61]
	v_add_f64 v[60:61], v[96:97], v[104:105]
	;; [unrolled: 1-line block ×12, first 2 shown]
	v_mul_f64 v[6:7], v[132:133], s[58:59]
	v_add_f64 v[60:61], v[60:61], v[42:43]
	v_fma_f64 v[4:5], s[22:23], v[130:131], v[6:7]
	v_add_f64 v[60:61], v[60:61], v[86:87]
	v_add_f64 v[4:5], v[4:5], v[62:63]
	;; [unrolled: 1-line block ×3, first 2 shown]
	v_mov_b32_e32 v63, 3
	v_add_f64 v[60:61], v[60:61], v[74:75]
	v_mul_u32_u24_e32 v62, 0x908, v121
	v_lshlrev_b32_sdwa v63, v63, v120 dst_sel:DWORD dst_unused:UNUSED_PAD src0_sel:DWORD src1_sel:BYTE_0
	v_fma_f64 v[0:1], v[130:131], s[20:21], -v[0:1]
	v_fma_f64 v[2:3], v[130:131], s[26:27], -v[2:3]
	;; [unrolled: 1-line block ×3, first 2 shown]
	v_add_f64 v[60:61], v[60:61], v[70:71]
	v_add3_u32 v120, 0, v62, v63
	v_add_f64 v[0:1], v[0:1], v[126:127]
	v_add_f64 v[2:3], v[2:3], v[128:129]
	;; [unrolled: 1-line block ×3, first 2 shown]
	s_barrier
	ds_write2_b64 v120, v[60:61], v[134:135] offset1:17
	ds_write2_b64 v120, v[10:11], v[8:9] offset0:34 offset1:51
	ds_write2_b64 v120, v[12:13], v[14:15] offset0:68 offset1:85
	;; [unrolled: 1-line block ×7, first 2 shown]
	ds_write_b64 v120, v[52:53] offset:2176
	v_add_u32_e32 v4, 0x1000, v115
	s_waitcnt lgkmcnt(0)
	s_barrier
	ds_read2_b64 v[0:3], v116 offset0:33 offset1:135
	ds_read2_b64 v[12:15], v4 offset0:66 offset1:168
	;; [unrolled: 1-line block ×5, first 2 shown]
	ds_read_b64 v[62:63], v115
	ds_read_b64 v[64:65], v112
	v_sub_u32_e32 v60, 0, v114
	v_add_u32_e32 v113, v113, v60
                                        ; implicit-def: $vgpr60_vgpr61
	s_and_saveexec_b64 s[60:61], s[0:1]
	s_cbranch_execz .LBB0_15
; %bb.14:
	ds_read_b64 v[50:51], v111
	ds_read_b64 v[56:57], v113 offset:3944
	ds_read_b64 v[58:59], v113 offset:6256
	;; [unrolled: 1-line block ×5, first 2 shown]
.LBB0_15:
	s_or_b64 exec, exec, s[60:61]
	v_add_f64 v[96:97], v[90:91], v[106:107]
	v_add_f64 v[96:97], v[96:97], v[100:101]
	;; [unrolled: 1-line block ×17, first 2 shown]
	v_add_f64 v[70:71], v[104:105], -v[70:71]
	v_mul_f64 v[104:105], v[66:67], s[14:15]
	v_mul_f64 v[114:115], v[66:67], s[18:19]
	;; [unrolled: 1-line block ×8, first 2 shown]
	v_add_f64 v[68:69], v[100:101], v[68:69]
	v_fma_f64 v[106:107], s[50:51], v[70:71], v[104:105]
	v_fmac_f64_e32 v[104:105], s[2:3], v[70:71]
	v_fma_f64 v[116:117], s[54:55], v[70:71], v[114:115]
	v_fmac_f64_e32 v[114:115], s[6:7], v[70:71]
	;; [unrolled: 2-line block ×8, first 2 shown]
	v_add_f64 v[70:71], v[102:103], -v[74:75]
	v_mul_f64 v[74:75], v[68:69], s[18:19]
	v_add_f64 v[106:107], v[90:91], v[106:107]
	v_add_f64 v[104:105], v[90:91], v[104:105]
	;; [unrolled: 1-line block ×16, first 2 shown]
	v_fma_f64 v[90:91], s[54:55], v[70:71], v[74:75]
	v_fmac_f64_e32 v[74:75], s[6:7], v[70:71]
	v_mul_f64 v[100:101], v[68:69], s[22:23]
	v_add_f64 v[74:75], v[74:75], v[104:105]
	v_fma_f64 v[102:103], s[58:59], v[70:71], v[100:101]
	v_fmac_f64_e32 v[100:101], s[12:13], v[70:71]
	v_mul_f64 v[104:105], v[68:69], s[30:31]
	v_add_f64 v[90:91], v[90:91], v[106:107]
	v_add_f64 v[100:101], v[100:101], v[114:115]
	v_fma_f64 v[106:107], s[56:57], v[70:71], v[104:105]
	v_fmac_f64_e32 v[104:105], s[28:29], v[70:71]
	v_mul_f64 v[114:115], v[68:69], s[40:41]
	v_add_f64 v[102:103], v[102:103], v[116:117]
	;; [unrolled: 5-line block ×4, first 2 shown]
	v_add_f64 v[118:119], v[118:119], v[128:129]
	v_fma_f64 v[126:127], s[24:25], v[70:71], v[124:125]
	v_fmac_f64_e32 v[124:125], s[44:45], v[70:71]
	v_mul_f64 v[128:129], v[68:69], s[20:21]
	v_mul_f64 v[68:69], v[68:69], s[14:15]
	v_add_f64 v[124:125], v[124:125], v[132:133]
	v_fma_f64 v[132:133], s[2:3], v[70:71], v[68:69]
	v_fmac_f64_e32 v[68:69], s[50:51], v[70:71]
	v_add_f64 v[66:67], v[68:69], v[66:67]
	v_add_f64 v[68:69], v[88:89], v[72:73]
	;; [unrolled: 1-line block ×3, first 2 shown]
	v_fma_f64 v[130:131], s[8:9], v[70:71], v[128:129]
	v_fmac_f64_e32 v[128:129], s[48:49], v[70:71]
	v_add_f64 v[70:71], v[98:99], -v[78:79]
	v_mul_f64 v[72:73], v[68:69], s[20:21]
	v_fma_f64 v[78:79], s[48:49], v[70:71], v[72:73]
	v_fmac_f64_e32 v[72:73], s[8:9], v[70:71]
	v_add_f64 v[72:73], v[72:73], v[74:75]
	v_mul_f64 v[74:75], v[68:69], s[30:31]
	v_add_f64 v[78:79], v[78:79], v[90:91]
	v_fma_f64 v[88:89], s[56:57], v[70:71], v[74:75]
	v_fmac_f64_e32 v[74:75], s[28:29], v[70:71]
	v_mul_f64 v[90:91], v[68:69], s[40:41]
	v_add_f64 v[74:75], v[74:75], v[100:101]
	v_fma_f64 v[98:99], s[38:39], v[70:71], v[90:91]
	v_fmac_f64_e32 v[90:91], s[52:53], v[70:71]
	v_mul_f64 v[100:101], v[68:69], s[26:27]
	v_add_f64 v[88:89], v[88:89], v[102:103]
	v_add_f64 v[90:91], v[90:91], v[104:105]
	v_fma_f64 v[102:103], s[24:25], v[70:71], v[100:101]
	v_fmac_f64_e32 v[100:101], s[44:45], v[70:71]
	v_mul_f64 v[104:105], v[68:69], s[18:19]
	v_add_f64 v[98:99], v[98:99], v[106:107]
	;; [unrolled: 5-line block ×3, first 2 shown]
	v_add_f64 v[104:105], v[104:105], v[118:119]
	v_fma_f64 v[116:117], s[50:51], v[70:71], v[114:115]
	v_fmac_f64_e32 v[114:115], s[2:3], v[70:71]
	v_mul_f64 v[118:119], v[68:69], s[22:23]
	v_mul_f64 v[68:69], v[68:69], s[36:37]
	v_add_f64 v[114:115], v[114:115], v[124:125]
	v_fma_f64 v[124:125], s[46:47], v[70:71], v[68:69]
	v_fmac_f64_e32 v[68:69], s[34:35], v[70:71]
	v_add_f64 v[66:67], v[68:69], v[66:67]
	v_add_f64 v[68:69], v[82:83], v[76:77]
	;; [unrolled: 1-line block ×3, first 2 shown]
	v_fma_f64 v[122:123], s[58:59], v[70:71], v[118:119]
	v_fmac_f64_e32 v[118:119], s[12:13], v[70:71]
	v_add_f64 v[70:71], v[80:81], -v[86:87]
	v_mul_f64 v[76:77], v[68:69], s[22:23]
	v_fma_f64 v[80:81], s[58:59], v[70:71], v[76:77]
	v_fmac_f64_e32 v[76:77], s[12:13], v[70:71]
	v_add_f64 v[72:73], v[76:77], v[72:73]
	v_mul_f64 v[76:77], v[68:69], s[40:41]
	v_add_f64 v[78:79], v[80:81], v[78:79]
	v_fma_f64 v[80:81], s[52:53], v[70:71], v[76:77]
	v_fmac_f64_e32 v[76:77], s[38:39], v[70:71]
	v_add_f64 v[74:75], v[76:77], v[74:75]
	v_mul_f64 v[76:77], v[68:69], s[26:27]
	v_fma_f64 v[82:83], s[24:25], v[70:71], v[76:77]
	v_fmac_f64_e32 v[76:77], s[44:45], v[70:71]
	v_mul_f64 v[86:87], v[68:69], s[14:15]
	v_add_f64 v[80:81], v[80:81], v[88:89]
	v_add_f64 v[76:77], v[76:77], v[90:91]
	v_fma_f64 v[88:89], s[2:3], v[70:71], v[86:87]
	v_fmac_f64_e32 v[86:87], s[50:51], v[70:71]
	v_mul_f64 v[90:91], v[68:69], s[20:21]
	v_add_f64 v[82:83], v[82:83], v[98:99]
	v_add_f64 v[86:87], v[86:87], v[100:101]
	;; [unrolled: 5-line block ×3, first 2 shown]
	v_fma_f64 v[102:103], s[46:47], v[70:71], v[100:101]
	v_fmac_f64_e32 v[100:101], s[34:35], v[70:71]
	v_mul_f64 v[104:105], v[68:69], s[30:31]
	v_mul_f64 v[68:69], v[68:69], s[18:19]
	v_add_f64 v[46:47], v[46:47], v[48:49]
	v_add_f64 v[100:101], v[100:101], v[114:115]
	v_fma_f64 v[114:115], s[6:7], v[70:71], v[68:69]
	v_fmac_f64_e32 v[68:69], s[54:55], v[70:71]
	v_add_f64 v[42:43], v[84:85], -v[42:43]
	v_mul_f64 v[48:49], v[46:47], s[26:27]
	v_add_f64 v[98:99], v[98:99], v[106:107]
	v_fma_f64 v[106:107], s[28:29], v[70:71], v[104:105]
	v_fmac_f64_e32 v[104:105], s[56:57], v[70:71]
	v_add_f64 v[66:67], v[68:69], v[66:67]
	v_fma_f64 v[68:69], s[44:45], v[42:43], v[48:49]
	v_fmac_f64_e32 v[48:49], s[24:25], v[42:43]
	v_mul_f64 v[70:71], v[46:47], s[36:37]
	v_add_f64 v[48:49], v[48:49], v[72:73]
	v_fma_f64 v[72:73], s[34:35], v[42:43], v[70:71]
	v_fmac_f64_e32 v[70:71], s[46:47], v[42:43]
	v_add_f64 v[70:71], v[70:71], v[74:75]
	v_mul_f64 v[74:75], v[46:47], s[18:19]
	v_add_f64 v[68:69], v[68:69], v[78:79]
	v_fma_f64 v[78:79], s[6:7], v[42:43], v[74:75]
	v_fmac_f64_e32 v[74:75], s[54:55], v[42:43]
	v_add_f64 v[74:75], v[74:75], v[76:77]
	v_mul_f64 v[76:77], v[46:47], s[20:21]
	v_add_f64 v[72:73], v[72:73], v[80:81]
	v_add_f64 v[78:79], v[78:79], v[82:83]
	v_fma_f64 v[80:81], s[48:49], v[42:43], v[76:77]
	v_fmac_f64_e32 v[76:77], s[8:9], v[42:43]
	v_mul_f64 v[82:83], v[46:47], s[40:41]
	v_add_f64 v[76:77], v[76:77], v[86:87]
	v_fma_f64 v[84:85], s[52:53], v[42:43], v[82:83]
	v_fmac_f64_e32 v[82:83], s[38:39], v[42:43]
	v_mul_f64 v[86:87], v[46:47], s[22:23]
	v_add_f64 v[80:81], v[80:81], v[88:89]
	v_add_f64 v[82:83], v[82:83], v[90:91]
	v_fma_f64 v[88:89], s[12:13], v[42:43], v[86:87]
	v_fmac_f64_e32 v[86:87], s[58:59], v[42:43]
	v_mul_f64 v[90:91], v[46:47], s[14:15]
	v_mul_f64 v[46:47], v[46:47], s[30:31]
	v_add_f64 v[38:39], v[40:41], v[38:39]
	v_add_f64 v[86:87], v[86:87], v[100:101]
	v_fma_f64 v[100:101], s[56:57], v[42:43], v[46:47]
	v_fmac_f64_e32 v[46:47], s[28:29], v[42:43]
	v_add_f64 v[36:37], v[44:45], -v[36:37]
	v_mul_f64 v[40:41], v[38:39], s[30:31]
	v_add_f64 v[84:85], v[84:85], v[98:99]
	v_fma_f64 v[98:99], s[50:51], v[42:43], v[90:91]
	v_fmac_f64_e32 v[90:91], s[2:3], v[42:43]
	v_add_f64 v[42:43], v[46:47], v[66:67]
	v_fma_f64 v[44:45], s[56:57], v[36:37], v[40:41]
	v_fmac_f64_e32 v[40:41], s[28:29], v[36:37]
	v_mul_f64 v[46:47], v[38:39], s[26:27]
	v_add_f64 v[40:41], v[40:41], v[48:49]
	v_fma_f64 v[48:49], s[24:25], v[36:37], v[46:47]
	v_fmac_f64_e32 v[46:47], s[44:45], v[36:37]
	v_mul_f64 v[66:67], v[38:39], s[14:15]
	v_add_f64 v[44:45], v[44:45], v[68:69]
	v_add_f64 v[46:47], v[46:47], v[70:71]
	v_fma_f64 v[68:69], s[50:51], v[36:37], v[66:67]
	v_fmac_f64_e32 v[66:67], s[2:3], v[36:37]
	v_mul_f64 v[70:71], v[38:39], s[36:37]
	v_add_f64 v[48:49], v[48:49], v[72:73]
	v_add_f64 v[66:67], v[66:67], v[74:75]
	v_fma_f64 v[72:73], s[46:47], v[36:37], v[70:71]
	v_fmac_f64_e32 v[70:71], s[34:35], v[36:37]
	v_mul_f64 v[74:75], v[38:39], s[22:23]
	v_add_f64 v[68:69], v[68:69], v[78:79]
	v_add_f64 v[70:71], v[70:71], v[76:77]
	v_fma_f64 v[76:77], s[12:13], v[36:37], v[74:75]
	v_fmac_f64_e32 v[74:75], s[58:59], v[36:37]
	v_mul_f64 v[78:79], v[38:39], s[18:19]
	v_add_f64 v[72:73], v[72:73], v[80:81]
	v_add_f64 v[74:75], v[74:75], v[82:83]
	v_fma_f64 v[80:81], s[54:55], v[36:37], v[78:79]
	v_fmac_f64_e32 v[78:79], s[6:7], v[36:37]
	v_mul_f64 v[82:83], v[38:39], s[40:41]
	v_mul_f64 v[38:39], v[38:39], s[20:21]
	v_add_f64 v[30:31], v[30:31], v[34:35]
	v_add_f64 v[78:79], v[78:79], v[86:87]
	v_fma_f64 v[86:87], s[8:9], v[36:37], v[38:39]
	v_fmac_f64_e32 v[38:39], s[48:49], v[36:37]
	v_add_f64 v[28:29], v[28:29], -v[32:33]
	v_mul_f64 v[32:33], v[30:31], s[36:37]
	v_add_f64 v[76:77], v[76:77], v[84:85]
	v_fma_f64 v[84:85], s[52:53], v[36:37], v[82:83]
	v_fmac_f64_e32 v[82:83], s[38:39], v[36:37]
	v_add_f64 v[36:37], v[38:39], v[42:43]
	v_fma_f64 v[34:35], s[46:47], v[28:29], v[32:33]
	v_mul_f64 v[42:43], v[30:31], s[22:23]
	v_add_f64 v[34:35], v[34:35], v[44:45]
	v_fmac_f64_e32 v[32:33], s[34:35], v[28:29]
	v_mul_f64 v[38:39], v[30:31], s[20:21]
	v_fma_f64 v[44:45], s[58:59], v[28:29], v[42:43]
	v_fmac_f64_e32 v[42:43], s[12:13], v[28:29]
	v_add_f64 v[126:127], v[126:127], v[134:135]
	v_add_f64 v[32:33], v[32:33], v[40:41]
	v_fma_f64 v[40:41], s[8:9], v[28:29], v[38:39]
	v_fmac_f64_e32 v[38:39], s[48:49], v[28:29]
	v_add_f64 v[42:43], v[42:43], v[66:67]
	v_mul_f64 v[66:67], v[30:31], s[14:15]
	v_add_f64 v[128:129], v[128:129], v[136:137]
	v_add_f64 v[116:117], v[116:117], v[126:127]
	;; [unrolled: 1-line block ×4, first 2 shown]
	v_mul_f64 v[46:47], v[30:31], s[30:31]
	v_fma_f64 v[68:69], s[50:51], v[28:29], v[66:67]
	v_add_f64 v[132:133], v[132:133], v[140:141]
	v_add_f64 v[118:119], v[118:119], v[128:129]
	;; [unrolled: 1-line block ×4, first 2 shown]
	v_fma_f64 v[48:49], s[28:29], v[28:29], v[46:47]
	v_fmac_f64_e32 v[46:47], s[56:57], v[28:29]
	v_add_f64 v[76:77], v[68:69], v[76:77]
	v_mul_f64 v[68:69], v[30:31], s[40:41]
	v_add_f64 v[124:125], v[124:125], v[132:133]
	v_add_f64 v[104:105], v[104:105], v[118:119]
	v_add_f64 v[88:89], v[88:89], v[102:103]
	v_add_f64 v[46:47], v[46:47], v[70:71]
	v_fma_f64 v[70:71], s[52:53], v[28:29], v[68:69]
	v_fmac_f64_e32 v[68:69], s[38:39], v[28:29]
	v_add_f64 v[130:131], v[130:131], v[138:139]
	v_add_f64 v[114:115], v[114:115], v[124:125]
	v_add_f64 v[90:91], v[90:91], v[104:105]
	v_add_f64 v[80:81], v[80:81], v[88:89]
	v_add_f64 v[78:79], v[68:69], v[78:79]
	v_mul_f64 v[68:69], v[30:31], s[18:19]
	v_add_f64 v[22:23], v[22:23], v[26:27]
	v_add_f64 v[122:123], v[122:123], v[130:131]
	;; [unrolled: 1-line block ×5, first 2 shown]
	v_fma_f64 v[70:71], s[6:7], v[28:29], v[68:69]
	v_fmac_f64_e32 v[68:69], s[54:55], v[28:29]
	v_mul_f64 v[30:31], v[30:31], s[26:27]
	v_add_f64 v[20:21], v[20:21], -v[24:25]
	v_mul_f64 v[24:25], v[22:23], s[40:41]
	v_add_f64 v[106:107], v[106:107], v[122:123]
	v_add_f64 v[86:87], v[86:87], v[100:101]
	;; [unrolled: 1-line block ×3, first 2 shown]
	v_fma_f64 v[68:69], s[44:45], v[28:29], v[30:31]
	v_fma_f64 v[26:27], s[52:53], v[20:21], v[24:25]
	v_fmac_f64_e32 v[24:25], s[38:39], v[20:21]
	v_add_f64 v[98:99], v[98:99], v[106:107]
	v_add_f64 v[86:87], v[68:69], v[86:87]
	v_fmac_f64_e32 v[30:31], s[24:25], v[28:29]
	v_add_f64 v[68:69], v[24:25], v[32:33]
	v_mul_f64 v[24:25], v[22:23], s[14:15]
	v_add_f64 v[84:85], v[84:85], v[98:99]
	v_fmac_f64_e32 v[66:67], s[2:3], v[28:29]
	v_add_f64 v[28:29], v[30:31], v[36:37]
	v_fma_f64 v[30:31], s[2:3], v[20:21], v[24:25]
	v_fmac_f64_e32 v[24:25], s[50:51], v[20:21]
	v_add_f64 v[84:85], v[70:71], v[84:85]
	v_add_f64 v[70:71], v[24:25], v[38:39]
	v_mul_f64 v[24:25], v[22:23], s[36:37]
	v_fma_f64 v[32:33], s[46:47], v[20:21], v[24:25]
	v_fmac_f64_e32 v[24:25], s[34:35], v[20:21]
	v_add_f64 v[66:67], v[66:67], v[74:75]
	v_add_f64 v[74:75], v[24:25], v[42:43]
	v_mul_f64 v[24:25], v[22:23], s[18:19]
	v_add_f64 v[26:27], v[26:27], v[34:35]
	v_fma_f64 v[34:35], s[6:7], v[20:21], v[24:25]
	v_fmac_f64_e32 v[24:25], s[54:55], v[20:21]
	v_add_f64 v[48:49], v[48:49], v[72:73]
	v_add_f64 v[72:73], v[24:25], v[46:47]
	v_mul_f64 v[24:25], v[22:23], s[30:31]
	v_fma_f64 v[36:37], s[56:57], v[20:21], v[24:25]
	v_fmac_f64_e32 v[24:25], s[28:29], v[20:21]
	v_add_f64 v[66:67], v[24:25], v[66:67]
	v_mul_f64 v[24:25], v[22:23], s[20:21]
	v_add_f64 v[30:31], v[30:31], v[40:41]
	v_fma_f64 v[38:39], s[8:9], v[20:21], v[24:25]
	v_fmac_f64_e32 v[24:25], s[48:49], v[20:21]
	v_mul_f64 v[40:41], v[22:23], s[26:27]
	v_mul_f64 v[22:23], v[22:23], s[22:23]
	v_add_f64 v[32:33], v[32:33], v[44:45]
	v_add_f64 v[24:25], v[24:25], v[78:79]
	v_fma_f64 v[42:43], s[44:45], v[20:21], v[40:41]
	v_fmac_f64_e32 v[40:41], s[24:25], v[20:21]
	v_fma_f64 v[44:45], s[12:13], v[20:21], v[22:23]
	v_fmac_f64_e32 v[22:23], s[58:59], v[20:21]
	v_add_f64 v[34:35], v[34:35], v[48:49]
	v_add_f64 v[36:37], v[36:37], v[76:77]
	;; [unrolled: 1-line block ×7, first 2 shown]
	s_waitcnt lgkmcnt(0)
	s_barrier
	ds_write2_b64 v120, v[96:97], v[26:27] offset1:17
	ds_write2_b64 v120, v[30:31], v[32:33] offset0:34 offset1:51
	ds_write2_b64 v120, v[34:35], v[36:37] offset0:68 offset1:85
	;; [unrolled: 1-line block ×7, first 2 shown]
	ds_write_b64 v120, v[68:69] offset:2176
	v_add_u32_e32 v24, 0x1000, v113
	v_add_u32_e32 v28, 0x2000, v113
	s_waitcnt lgkmcnt(0)
	s_barrier
	v_add_u32_e32 v20, 0x800, v113
	ds_read2_b64 v[32:35], v24 offset0:66 offset1:168
	v_add_u32_e32 v24, 0x1800, v113
	ds_read2_b64 v[36:39], v28 offset0:132 offset1:234
	;; [unrolled: 2-line block ×3, first 2 shown]
	ds_read2_b64 v[24:27], v24 offset0:99 offset1:201
	ds_read2_b64 v[28:31], v28 offset0:37 offset1:139
	ds_read_b64 v[80:81], v113
	ds_read_b64 v[40:41], v112
                                        ; implicit-def: $vgpr76_vgpr77
	s_and_saveexec_b64 s[2:3], s[0:1]
	s_cbranch_execz .LBB0_17
; %bb.16:
	ds_read_b64 v[66:67], v111
	ds_read_b64 v[72:73], v113 offset:3944
	ds_read_b64 v[74:75], v113 offset:6256
	;; [unrolled: 1-line block ×5, first 2 shown]
.LBB0_17:
	s_or_b64 exec, exec, s[2:3]
	s_and_saveexec_b64 s[2:3], vcc
	s_cbranch_execz .LBB0_20
; %bb.18:
	v_mul_i32_i24_e32 v78, 5, v110
	v_mov_b32_e32 v79, 0
	v_lshl_add_u64 v[82:83], v[78:79], 4, s[4:5]
	s_mov_b64 s[8:9], 0x1100
	v_lshl_add_u64 v[84:85], v[82:83], 0, s[8:9]
	v_add_co_u32_e32 v82, vcc, 0x1000, v82
	global_load_dwordx4 v[42:45], v[84:85], off offset:16
	global_load_dwordx4 v[46:49], v[84:85], off offset:32
	v_addc_co_u32_e32 v83, vcc, 0, v83, vcc
	global_load_dwordx4 v[84:87], v[84:85], off offset:48
	s_nop 0
	global_load_dwordx4 v[88:91], v[82:83], off offset:320
	global_load_dwordx4 v[96:99], v[82:83], off offset:256
	v_mul_u32_u24_e32 v78, 5, v108
	v_lshlrev_b32_e32 v78, 4, v78
	v_mul_lo_u32 v110, s43, v94
	v_mul_lo_u32 v111, s42, v95
	v_mad_u64_u32 v[82:83], s[2:3], s42, v94, 0
	v_lshl_add_u64 v[94:95], s[4:5], 0, v[78:79]
	s_movk_i32 s12, 0x1000
	v_lshl_add_u64 v[122:123], v[94:95], 0, s[8:9]
	global_load_dwordx4 v[100:103], v[122:123], off offset:16
	global_load_dwordx4 v[104:107], v[122:123], off offset:48
	v_add_co_u32_e32 v94, vcc, s12, v94
	v_add3_u32 v83, v83, v111, v110
	s_nop 0
	v_addc_co_u32_e32 v95, vcc, 0, v95, vcc
	global_load_dwordx4 v[110:113], v[122:123], off offset:32
	global_load_dwordx4 v[114:117], v[94:95], off offset:256
	;; [unrolled: 1-line block ×3, first 2 shown]
	s_mov_b32 s2, 0xe8584caa
	s_mov_b32 s3, 0xbfebb67a
	;; [unrolled: 1-line block ×5, first 2 shown]
	s_movk_i32 s15, 0x121
	s_waitcnt vmcnt(9)
	v_mul_f64 v[94:95], v[14:15], v[44:45]
	s_waitcnt lgkmcnt(6)
	v_mul_f64 v[122:123], v[34:35], v[44:45]
	s_waitcnt vmcnt(8)
	v_mul_f64 v[44:45], v[10:11], v[48:49]
	s_waitcnt lgkmcnt(3)
	v_mul_f64 v[124:125], v[26:27], v[48:49]
	v_fma_f64 v[34:35], v[34:35], v[42:43], -v[94:95]
	v_fmac_f64_e32 v[122:123], v[14:15], v[42:43]
	s_waitcnt vmcnt(7)
	v_mul_f64 v[14:15], v[38:39], v[86:87]
	s_waitcnt vmcnt(6)
	v_mul_f64 v[42:43], v[6:7], v[90:91]
	v_mul_f64 v[48:49], v[18:19], v[86:87]
	v_fma_f64 v[26:27], v[26:27], v[46:47], -v[44:45]
	s_waitcnt vmcnt(5)
	v_mul_f64 v[86:87], v[2:3], v[96:97]
	v_fmac_f64_e32 v[124:125], v[10:11], v[46:47]
	s_waitcnt lgkmcnt(2)
	v_mul_f64 v[10:11], v[30:31], v[90:91]
	v_mul_f64 v[2:3], v[2:3], v[98:99]
	v_fmac_f64_e32 v[14:15], v[18:19], v[84:85]
	v_fma_f64 v[18:19], v[30:31], v[88:89], -v[42:43]
	v_fma_f64 v[38:39], v[38:39], v[84:85], -v[48:49]
	v_fmac_f64_e32 v[10:11], v[6:7], v[88:89]
	v_fma_f64 v[2:3], v[22:23], v[96:97], -v[2:3]
	v_add_f64 v[46:47], v[26:27], v[18:19]
	v_fmac_f64_e32 v[86:87], v[22:23], v[98:99]
	s_waitcnt lgkmcnt(0)
	v_add_f64 v[6:7], v[40:41], v[34:35]
	v_add_f64 v[22:23], v[34:35], v[38:39]
	v_add_f64 v[42:43], v[26:27], -v[18:19]
	v_add_f64 v[44:45], v[124:125], v[10:11]
	v_add_f64 v[48:49], v[124:125], -v[10:11]
	v_add_f64 v[26:27], v[26:27], v[2:3]
	v_fma_f64 v[2:3], -0.5, v[46:47], v[2:3]
	v_add_f64 v[6:7], v[6:7], v[38:39]
	v_add_f64 v[34:35], v[34:35], -v[38:39]
	v_add_f64 v[38:39], v[122:123], v[14:15]
	v_fma_f64 v[22:23], -0.5, v[22:23], v[40:41]
	v_fma_f64 v[84:85], -0.5, v[44:45], v[86:87]
	v_fma_f64 v[40:41], s[2:3], v[48:49], v[2:3]
	v_fmac_f64_e32 v[2:3], s[6:7], v[48:49]
	v_add_f64 v[30:31], v[122:123], -v[14:15]
	v_add_f64 v[18:19], v[18:19], v[26:27]
	v_fma_f64 v[26:27], -0.5, v[38:39], v[64:65]
	v_fma_f64 v[38:39], s[6:7], v[42:43], v[84:85]
	v_fmac_f64_e32 v[84:85], s[2:3], v[42:43]
	v_mul_f64 v[90:91], v[40:41], -0.5
	v_mul_f64 v[94:95], v[2:3], 0.5
	v_mul_f64 v[2:3], v[2:3], s[2:3]
	v_fma_f64 v[88:89], s[2:3], v[30:31], v[22:23]
	v_fmac_f64_e32 v[22:23], s[6:7], v[30:31]
	v_fma_f64 v[30:31], s[6:7], v[34:35], v[26:27]
	v_fmac_f64_e32 v[90:91], s[6:7], v[38:39]
	v_fmac_f64_e32 v[26:27], s[2:3], v[34:35]
	v_fmac_f64_e32 v[2:3], 0.5, v[84:85]
	v_add_f64 v[34:35], v[64:65], v[122:123]
	v_add_f64 v[48:49], v[6:7], -v[18:19]
	v_mul_f64 v[98:99], v[40:41], s[2:3]
	v_fmac_f64_e32 v[94:95], s[6:7], v[84:85]
	v_add_f64 v[40:41], v[88:89], -v[90:91]
	v_add_f64 v[42:43], v[26:27], -v[2:3]
	v_add_f64 v[14:15], v[34:35], v[14:15]
	v_add_f64 v[34:35], v[124:125], v[86:87]
	;; [unrolled: 1-line block ×5, first 2 shown]
	s_waitcnt vmcnt(4)
	v_mul_f64 v[2:3], v[12:13], v[102:103]
	s_waitcnt vmcnt(3)
	v_mul_f64 v[6:7], v[16:17], v[106:107]
	v_add_f64 v[44:45], v[22:23], -v[94:95]
	v_add_f64 v[10:11], v[10:11], v[34:35]
	v_add_f64 v[90:91], v[22:23], v[94:95]
	v_fma_f64 v[2:3], v[32:33], v[100:101], -v[2:3]
	v_fma_f64 v[6:7], v[36:37], v[104:105], -v[6:7]
	s_waitcnt vmcnt(2)
	v_mul_f64 v[22:23], v[8:9], v[112:113]
	s_waitcnt vmcnt(0)
	v_mul_f64 v[26:27], v[4:5], v[120:121]
	v_add_f64 v[46:47], v[14:15], -v[10:11]
	v_add_f64 v[94:95], v[14:15], v[10:11]
	v_add_f64 v[10:11], v[2:3], v[6:7]
	v_fma_f64 v[22:23], v[24:25], v[110:111], -v[22:23]
	v_fma_f64 v[26:27], v[28:29], v[118:119], -v[26:27]
	v_mul_f64 v[24:25], v[24:25], v[112:113]
	v_mul_f64 v[28:29], v[28:29], v[120:121]
	v_fma_f64 v[14:15], -0.5, v[10:11], v[80:81]
	v_mul_f64 v[10:11], v[32:33], v[102:103]
	v_mul_f64 v[32:33], v[0:1], v[114:115]
	v_fmac_f64_e32 v[24:25], v[8:9], v[110:111]
	v_fmac_f64_e32 v[28:29], v[4:5], v[118:119]
	;; [unrolled: 1-line block ×3, first 2 shown]
	v_add_f64 v[4:5], v[24:25], v[28:29]
	v_mul_f64 v[0:1], v[0:1], v[116:117]
	v_mul_f64 v[18:19], v[36:37], v[106:107]
	v_fma_f64 v[34:35], -0.5, v[4:5], v[32:33]
	v_fma_f64 v[0:1], v[20:21], v[114:115], -v[0:1]
	v_add_f64 v[4:5], v[22:23], v[26:27]
	v_fmac_f64_e32 v[98:99], -0.5, v[38:39]
	v_fmac_f64_e32 v[10:11], v[12:13], v[100:101]
	v_fmac_f64_e32 v[18:19], v[16:17], v[104:105]
	v_fma_f64 v[20:21], -0.5, v[4:5], v[0:1]
	v_add_f64 v[8:9], v[24:25], -v[28:29]
	v_add_f64 v[38:39], v[30:31], -v[98:99]
	v_add_f64 v[84:85], v[30:31], v[98:99]
	v_add_f64 v[12:13], v[10:11], -v[18:19]
	v_add_f64 v[30:31], v[22:23], -v[26:27]
	v_fma_f64 v[64:65], s[2:3], v[8:9], v[20:21]
	v_fma_f64 v[16:17], s[2:3], v[12:13], v[14:15]
	v_fma_f64 v[36:37], s[6:7], v[30:31], v[34:35]
	v_mul_f64 v[98:99], v[64:65], -0.5
	v_fmac_f64_e32 v[14:15], s[6:7], v[12:13]
	v_fmac_f64_e32 v[20:21], s[6:7], v[8:9]
	v_add_f64 v[12:13], v[80:81], v[2:3]
	v_add_f64 v[0:1], v[22:23], v[0:1]
	v_mul_f64 v[64:65], v[64:65], s[2:3]
	v_fmac_f64_e32 v[98:99], s[6:7], v[36:37]
	v_fmac_f64_e32 v[34:35], s[2:3], v[30:31]
	v_mul_f64 v[30:31], v[20:21], 0.5
	v_add_f64 v[80:81], v[12:13], v[6:7]
	v_add_f64 v[0:1], v[26:27], v[0:1]
	v_add_f64 v[6:7], v[2:3], -v[6:7]
	v_add_f64 v[2:3], v[10:11], v[18:19]
	v_fmac_f64_e32 v[64:65], -0.5, v[36:37]
	v_mul_f64 v[36:37], v[20:21], s[2:3]
	v_add_f64 v[10:11], v[62:63], v[10:11]
	v_fmac_f64_e32 v[30:31], s[6:7], v[34:35]
	v_add_f64 v[12:13], v[80:81], -v[0:1]
	v_fmac_f64_e32 v[36:37], 0.5, v[34:35]
	v_add_f64 v[34:35], v[10:11], v[18:19]
	v_add_f64 v[10:11], v[24:25], v[32:33]
	v_add_f64 v[24:25], v[80:81], v[0:1]
	v_mul_hi_u32 v0, v108, s14
	v_fma_f64 v[22:23], -0.5, v[2:3], v[62:63]
	v_lshrrev_b32_e32 v0, 8, v0
	v_fma_f64 v[26:27], s[6:7], v[6:7], v[22:23]
	v_fmac_f64_e32 v[22:23], s[2:3], v[6:7]
	v_add_f64 v[28:29], v[28:29], v[10:11]
	v_mul_u32_u24_e32 v0, 0x121, v0
	v_add_f64 v[6:7], v[22:23], -v[36:37]
	v_add_f64 v[10:11], v[34:35], -v[28:29]
	v_add_f64 v[18:19], v[22:23], v[36:37]
	v_add_f64 v[22:23], v[34:35], v[28:29]
	v_sub_u32_e32 v28, v108, v0
	v_add_f64 v[8:9], v[14:15], -v[30:31]
	v_add_f64 v[2:3], v[26:27], -v[64:65]
	v_add_f64 v[20:21], v[14:15], v[30:31]
	v_add_f64 v[14:15], v[26:27], v[64:65]
	v_mad_u64_u32 v[26:27], s[12:13], s16, v28, 0
	v_mov_b32_e32 v0, v27
	v_mad_u64_u32 v[0:1], s[12:13], s17, v28, v[0:1]
	v_mov_b32_e32 v27, v0
	v_lshl_add_u64 v[0:1], v[82:83], 4, s[10:11]
	v_lshl_add_u64 v[0:1], v[92:93], 4, v[0:1]
	;; [unrolled: 1-line block ×3, first 2 shown]
	global_store_dwordx4 v[26:27], v[22:25], off
	v_add_f64 v[4:5], v[16:17], -v[98:99]
	v_add_f64 v[16:17], v[16:17], v[98:99]
	v_add_u32_e32 v25, 0x121, v28
	v_mad_u64_u32 v[22:23], s[10:11], s16, v25, 0
	v_mov_b32_e32 v24, v23
	v_mad_u64_u32 v[24:25], s[10:11], s17, v25, v[24:25]
	v_mov_b32_e32 v23, v24
	v_lshl_add_u64 v[22:23], v[22:23], 4, v[0:1]
	global_store_dwordx4 v[22:23], v[18:21], off
	s_nop 1
	v_add_u32_e32 v21, 0x242, v28
	v_mad_u64_u32 v[18:19], s[10:11], s16, v21, 0
	v_mov_b32_e32 v20, v19
	v_mad_u64_u32 v[20:21], s[10:11], s17, v21, v[20:21]
	v_mov_b32_e32 v19, v20
	v_lshl_add_u64 v[18:19], v[18:19], 4, v[0:1]
	global_store_dwordx4 v[18:19], v[14:17], off
	s_nop 1
	;; [unrolled: 8-line block ×4, first 2 shown]
	v_add_u32_e32 v9, 0x5a5, v28
	v_mad_u64_u32 v[6:7], s[10:11], s16, v9, 0
	v_mov_b32_e32 v8, v7
	v_mad_u64_u32 v[8:9], s[10:11], s17, v9, v[8:9]
	v_mov_b32_e32 v7, v8
	v_lshl_add_u64 v[6:7], v[6:7], 4, v[0:1]
	global_store_dwordx4 v[6:7], v[2:5], off
	s_movk_i32 s10, 0x6c6
	s_nop 0
	v_add_u32_e32 v2, 0x66, v108
	v_mul_hi_u32 v3, v2, s14
	v_lshrrev_b32_e32 v3, 8, v3
	v_mul_u32_u24_e32 v4, 0x121, v3
	v_sub_u32_e32 v2, v2, v4
	v_mad_u32_u24 v6, v3, s10, v2
	v_mad_u64_u32 v[2:3], s[10:11], s16, v6, 0
	v_mov_b32_e32 v4, v3
	v_mad_u64_u32 v[4:5], s[10:11], s17, v6, v[4:5]
	v_mov_b32_e32 v3, v4
	v_lshl_add_u64 v[2:3], v[2:3], 4, v[0:1]
	v_add_u32_e32 v5, 0x121, v6
	global_store_dwordx4 v[2:3], v[94:97], off
	v_mad_u64_u32 v[2:3], s[10:11], s16, v5, 0
	v_mov_b32_e32 v4, v3
	v_mad_u64_u32 v[4:5], s[10:11], s17, v5, v[4:5]
	v_mov_b32_e32 v3, v4
	v_lshl_add_u64 v[2:3], v[2:3], 4, v[0:1]
	v_add_u32_e32 v5, 0x242, v6
	global_store_dwordx4 v[2:3], v[88:91], off
	;; [unrolled: 7-line block ×5, first 2 shown]
	v_mad_u64_u32 v[2:3], s[10:11], s16, v5, 0
	v_mov_b32_e32 v4, v3
	v_mad_u64_u32 v[4:5], s[10:11], s17, v5, v[4:5]
	v_mov_b32_e32 v3, v4
	v_lshl_add_u64 v[2:3], v[2:3], 4, v[0:1]
	global_store_dwordx4 v[2:3], v[38:41], off
	v_add_u32_e32 v2, 0xcc, v108
	v_cmp_gt_u32_e32 vcc, s15, v2
	s_and_b64 exec, exec, vcc
	s_cbranch_execz .LBB0_20
; %bb.19:
	v_add_u32_e32 v3, 0xffffffab, v108
	v_cndmask_b32_e64 v3, v3, v109, s[0:1]
	v_mul_i32_i24_e32 v78, 5, v3
	v_lshl_add_u64 v[12:13], v[78:79], 4, s[4:5]
	v_lshl_add_u64 v[24:25], v[12:13], 0, s[8:9]
	v_add_co_u32_e32 v26, vcc, 0x1000, v12
	global_load_dwordx4 v[4:7], v[24:25], off offset:32
	global_load_dwordx4 v[8:11], v[24:25], off offset:16
	v_addc_co_u32_e32 v27, vcc, 0, v13, vcc
	global_load_dwordx4 v[12:15], v[26:27], off offset:256
	global_load_dwordx4 v[16:19], v[24:25], off offset:48
	;; [unrolled: 1-line block ×3, first 2 shown]
	v_mad_u64_u32 v[24:25], s[0:1], s16, v2, 0
	v_mov_b32_e32 v26, v25
	v_mad_u64_u32 v[2:3], s[0:1], s17, v2, v[26:27]
	v_mov_b32_e32 v25, v2
	v_add_u32_e32 v38, 0x1ed, v108
	v_mad_u64_u32 v[28:29], s[0:1], s16, v38, 0
	v_lshl_add_u64 v[24:25], v[24:25], 4, v[0:1]
	s_waitcnt vmcnt(4)
	v_mul_f64 v[26:27], v[70:71], v[6:7]
	s_waitcnt vmcnt(3)
	v_mul_f64 v[2:3], v[74:75], v[10:11]
	v_mul_f64 v[10:11], v[58:59], v[10:11]
	;; [unrolled: 1-line block ×3, first 2 shown]
	s_waitcnt vmcnt(2)
	v_mul_f64 v[30:31], v[72:73], v[14:15]
	v_mul_f64 v[14:15], v[56:57], v[14:15]
	v_fmac_f64_e32 v[2:3], v[58:59], v[8:9]
	v_fma_f64 v[8:9], v[74:75], v[8:9], -v[10:11]
	v_fmac_f64_e32 v[26:27], v[54:55], v[4:5]
	v_fma_f64 v[4:5], v[70:71], v[4:5], -v[6:7]
	s_waitcnt vmcnt(1)
	v_mul_f64 v[6:7], v[68:69], v[18:19]
	v_mul_f64 v[10:11], v[52:53], v[18:19]
	s_waitcnt vmcnt(0)
	v_mul_f64 v[18:19], v[76:77], v[22:23]
	v_mul_f64 v[22:23], v[60:61], v[22:23]
	v_fmac_f64_e32 v[30:31], v[56:57], v[12:13]
	v_fma_f64 v[12:13], v[72:73], v[12:13], -v[14:15]
	v_fma_f64 v[14:15], v[76:77], v[20:21], -v[22:23]
	v_fmac_f64_e32 v[6:7], v[52:53], v[16:17]
	v_fma_f64 v[10:11], v[68:69], v[16:17], -v[10:11]
	v_fmac_f64_e32 v[18:19], v[60:61], v[20:21]
	v_add_f64 v[16:17], v[50:51], v[2:3]
	v_add_f64 v[20:21], v[66:67], v[8:9]
	v_add_f64 v[34:35], v[4:5], -v[14:15]
	v_add_f64 v[36:37], v[12:13], v[4:5]
	v_add_f64 v[4:5], v[4:5], v[14:15]
	;; [unrolled: 1-line block ×4, first 2 shown]
	v_add_f64 v[32:33], v[8:9], -v[10:11]
	v_add_f64 v[20:21], v[20:21], v[10:11]
	v_add_f64 v[8:9], v[8:9], v[10:11]
	v_add_f64 v[2:3], v[2:3], -v[6:7]
	v_add_f64 v[6:7], v[30:31], v[26:27]
	v_add_f64 v[10:11], v[26:27], v[18:19]
	v_add_f64 v[26:27], v[26:27], -v[18:19]
	v_fmac_f64_e32 v[12:13], -0.5, v[4:5]
	v_fmac_f64_e32 v[66:67], -0.5, v[8:9]
	v_add_f64 v[6:7], v[6:7], v[18:19]
	v_fmac_f64_e32 v[30:31], -0.5, v[10:11]
	v_fma_f64 v[18:19], s[6:7], v[26:27], v[12:13]
	v_fmac_f64_e32 v[50:51], -0.5, v[22:23]
	v_add_f64 v[8:9], v[36:37], v[14:15]
	v_fma_f64 v[22:23], s[6:7], v[2:3], v[66:67]
	v_fmac_f64_e32 v[66:67], s[2:3], v[2:3]
	v_fma_f64 v[10:11], s[2:3], v[34:35], v[30:31]
	v_fmac_f64_e32 v[12:13], s[2:3], v[26:27]
	v_add_f64 v[2:3], v[16:17], v[6:7]
	v_add_f64 v[6:7], v[16:17], -v[6:7]
	v_mul_f64 v[16:17], v[18:19], s[2:3]
	v_mul_f64 v[26:27], v[18:19], 0.5
	v_fma_f64 v[14:15], s[2:3], v[32:33], v[50:51]
	v_add_f64 v[4:5], v[20:21], v[8:9]
	v_fmac_f64_e32 v[16:17], 0.5, v[10:11]
	v_fmac_f64_e32 v[26:27], s[6:7], v[10:11]
	global_store_dwordx4 v[24:25], v[2:5], off
	v_fmac_f64_e32 v[50:51], s[6:7], v[32:33]
	v_fmac_f64_e32 v[30:31], s[6:7], v[34:35]
	v_add_f64 v[2:3], v[14:15], v[16:17]
	v_add_f64 v[4:5], v[22:23], v[26:27]
	v_add_f64 v[14:15], v[14:15], -v[16:17]
	v_add_f64 v[16:17], v[22:23], -v[26:27]
	v_mov_b32_e32 v22, v29
	v_mad_u64_u32 v[22:23], s[0:1], s17, v38, v[22:23]
	v_mov_b32_e32 v29, v22
	v_lshl_add_u64 v[22:23], v[28:29], 4, v[0:1]
	global_store_dwordx4 v[22:23], v[2:5], off
	v_add_f64 v[8:9], v[20:21], -v[8:9]
	v_mul_f64 v[20:21], v[12:13], s[2:3]
	v_add_u32_e32 v5, 0x30e, v108
	v_mad_u64_u32 v[2:3], s[0:1], s16, v5, 0
	v_mov_b32_e32 v4, v3
	v_mul_f64 v[32:33], v[12:13], -0.5
	v_mad_u64_u32 v[4:5], s[0:1], s17, v5, v[4:5]
	v_fmac_f64_e32 v[20:21], -0.5, v[30:31]
	v_fmac_f64_e32 v[32:33], s[6:7], v[30:31]
	v_mov_b32_e32 v3, v4
	v_add_f64 v[10:11], v[50:51], v[20:21]
	v_add_f64 v[12:13], v[66:67], v[32:33]
	v_lshl_add_u64 v[2:3], v[2:3], 4, v[0:1]
	v_add_u32_e32 v5, 0x42f, v108
	global_store_dwordx4 v[2:3], v[10:13], off
	v_mad_u64_u32 v[2:3], s[0:1], s16, v5, 0
	v_mov_b32_e32 v4, v3
	v_mad_u64_u32 v[4:5], s[0:1], s17, v5, v[4:5]
	v_mov_b32_e32 v3, v4
	v_lshl_add_u64 v[2:3], v[2:3], 4, v[0:1]
	v_add_u32_e32 v5, 0x550, v108
	global_store_dwordx4 v[2:3], v[6:9], off
	v_mad_u64_u32 v[2:3], s[0:1], s16, v5, 0
	v_mov_b32_e32 v4, v3
	v_mad_u64_u32 v[4:5], s[0:1], s17, v5, v[4:5]
	v_mov_b32_e32 v3, v4
	;; [unrolled: 7-line block ×3, first 2 shown]
	v_add_f64 v[18:19], v[50:51], -v[20:21]
	v_add_f64 v[20:21], v[66:67], -v[32:33]
	v_lshl_add_u64 v[0:1], v[2:3], 4, v[0:1]
	global_store_dwordx4 v[0:1], v[18:21], off
.LBB0_20:
	s_endpgm
	.section	.rodata,"a",@progbits
	.p2align	6, 0x0
	.amdhsa_kernel fft_rtc_back_len1734_factors_17_17_6_wgs_102_tpt_102_halfLds_dp_op_CI_CI_sbrr_dirReg
		.amdhsa_group_segment_fixed_size 0
		.amdhsa_private_segment_fixed_size 0
		.amdhsa_kernarg_size 104
		.amdhsa_user_sgpr_count 2
		.amdhsa_user_sgpr_dispatch_ptr 0
		.amdhsa_user_sgpr_queue_ptr 0
		.amdhsa_user_sgpr_kernarg_segment_ptr 1
		.amdhsa_user_sgpr_dispatch_id 0
		.amdhsa_user_sgpr_kernarg_preload_length 0
		.amdhsa_user_sgpr_kernarg_preload_offset 0
		.amdhsa_user_sgpr_private_segment_size 0
		.amdhsa_uses_dynamic_stack 0
		.amdhsa_enable_private_segment 0
		.amdhsa_system_sgpr_workgroup_id_x 1
		.amdhsa_system_sgpr_workgroup_id_y 0
		.amdhsa_system_sgpr_workgroup_id_z 0
		.amdhsa_system_sgpr_workgroup_info 0
		.amdhsa_system_vgpr_workitem_id 0
		.amdhsa_next_free_vgpr 142
		.amdhsa_next_free_sgpr 62
		.amdhsa_accum_offset 144
		.amdhsa_reserve_vcc 1
		.amdhsa_float_round_mode_32 0
		.amdhsa_float_round_mode_16_64 0
		.amdhsa_float_denorm_mode_32 3
		.amdhsa_float_denorm_mode_16_64 3
		.amdhsa_dx10_clamp 1
		.amdhsa_ieee_mode 1
		.amdhsa_fp16_overflow 0
		.amdhsa_tg_split 0
		.amdhsa_exception_fp_ieee_invalid_op 0
		.amdhsa_exception_fp_denorm_src 0
		.amdhsa_exception_fp_ieee_div_zero 0
		.amdhsa_exception_fp_ieee_overflow 0
		.amdhsa_exception_fp_ieee_underflow 0
		.amdhsa_exception_fp_ieee_inexact 0
		.amdhsa_exception_int_div_zero 0
	.end_amdhsa_kernel
	.text
.Lfunc_end0:
	.size	fft_rtc_back_len1734_factors_17_17_6_wgs_102_tpt_102_halfLds_dp_op_CI_CI_sbrr_dirReg, .Lfunc_end0-fft_rtc_back_len1734_factors_17_17_6_wgs_102_tpt_102_halfLds_dp_op_CI_CI_sbrr_dirReg
                                        ; -- End function
	.section	.AMDGPU.csdata,"",@progbits
; Kernel info:
; codeLenInByte = 17780
; NumSgprs: 68
; NumVgprs: 142
; NumAgprs: 0
; TotalNumVgprs: 142
; ScratchSize: 0
; MemoryBound: 1
; FloatMode: 240
; IeeeMode: 1
; LDSByteSize: 0 bytes/workgroup (compile time only)
; SGPRBlocks: 8
; VGPRBlocks: 17
; NumSGPRsForWavesPerEU: 68
; NumVGPRsForWavesPerEU: 142
; AccumOffset: 144
; Occupancy: 3
; WaveLimiterHint : 1
; COMPUTE_PGM_RSRC2:SCRATCH_EN: 0
; COMPUTE_PGM_RSRC2:USER_SGPR: 2
; COMPUTE_PGM_RSRC2:TRAP_HANDLER: 0
; COMPUTE_PGM_RSRC2:TGID_X_EN: 1
; COMPUTE_PGM_RSRC2:TGID_Y_EN: 0
; COMPUTE_PGM_RSRC2:TGID_Z_EN: 0
; COMPUTE_PGM_RSRC2:TIDIG_COMP_CNT: 0
; COMPUTE_PGM_RSRC3_GFX90A:ACCUM_OFFSET: 35
; COMPUTE_PGM_RSRC3_GFX90A:TG_SPLIT: 0
	.text
	.p2alignl 6, 3212836864
	.fill 256, 4, 3212836864
	.type	__hip_cuid_b66a41585b48cf8e,@object ; @__hip_cuid_b66a41585b48cf8e
	.section	.bss,"aw",@nobits
	.globl	__hip_cuid_b66a41585b48cf8e
__hip_cuid_b66a41585b48cf8e:
	.byte	0                               ; 0x0
	.size	__hip_cuid_b66a41585b48cf8e, 1

	.ident	"AMD clang version 19.0.0git (https://github.com/RadeonOpenCompute/llvm-project roc-6.4.0 25133 c7fe45cf4b819c5991fe208aaa96edf142730f1d)"
	.section	".note.GNU-stack","",@progbits
	.addrsig
	.addrsig_sym __hip_cuid_b66a41585b48cf8e
	.amdgpu_metadata
---
amdhsa.kernels:
  - .agpr_count:     0
    .args:
      - .actual_access:  read_only
        .address_space:  global
        .offset:         0
        .size:           8
        .value_kind:     global_buffer
      - .offset:         8
        .size:           8
        .value_kind:     by_value
      - .actual_access:  read_only
        .address_space:  global
        .offset:         16
        .size:           8
        .value_kind:     global_buffer
      - .actual_access:  read_only
        .address_space:  global
        .offset:         24
        .size:           8
        .value_kind:     global_buffer
      - .actual_access:  read_only
        .address_space:  global
        .offset:         32
        .size:           8
        .value_kind:     global_buffer
      - .offset:         40
        .size:           8
        .value_kind:     by_value
      - .actual_access:  read_only
        .address_space:  global
        .offset:         48
        .size:           8
        .value_kind:     global_buffer
      - .actual_access:  read_only
        .address_space:  global
        .offset:         56
        .size:           8
        .value_kind:     global_buffer
      - .offset:         64
        .size:           4
        .value_kind:     by_value
      - .actual_access:  read_only
        .address_space:  global
        .offset:         72
        .size:           8
        .value_kind:     global_buffer
      - .actual_access:  read_only
        .address_space:  global
        .offset:         80
        .size:           8
        .value_kind:     global_buffer
      - .actual_access:  read_only
        .address_space:  global
        .offset:         88
        .size:           8
        .value_kind:     global_buffer
      - .actual_access:  write_only
        .address_space:  global
        .offset:         96
        .size:           8
        .value_kind:     global_buffer
    .group_segment_fixed_size: 0
    .kernarg_segment_align: 8
    .kernarg_segment_size: 104
    .language:       OpenCL C
    .language_version:
      - 2
      - 0
    .max_flat_workgroup_size: 102
    .name:           fft_rtc_back_len1734_factors_17_17_6_wgs_102_tpt_102_halfLds_dp_op_CI_CI_sbrr_dirReg
    .private_segment_fixed_size: 0
    .sgpr_count:     68
    .sgpr_spill_count: 0
    .symbol:         fft_rtc_back_len1734_factors_17_17_6_wgs_102_tpt_102_halfLds_dp_op_CI_CI_sbrr_dirReg.kd
    .uniform_work_group_size: 1
    .uses_dynamic_stack: false
    .vgpr_count:     142
    .vgpr_spill_count: 0
    .wavefront_size: 64
amdhsa.target:   amdgcn-amd-amdhsa--gfx950
amdhsa.version:
  - 1
  - 2
...

	.end_amdgpu_metadata
